;; amdgpu-corpus repo=ROCm/rocFFT kind=compiled arch=gfx1100 opt=O3
	.text
	.amdgcn_target "amdgcn-amd-amdhsa--gfx1100"
	.amdhsa_code_object_version 6
	.protected	fft_rtc_back_len884_factors_13_4_17_wgs_204_tpt_68_halfLds_dp_ip_CI_unitstride_sbrr_R2C_dirReg ; -- Begin function fft_rtc_back_len884_factors_13_4_17_wgs_204_tpt_68_halfLds_dp_ip_CI_unitstride_sbrr_R2C_dirReg
	.globl	fft_rtc_back_len884_factors_13_4_17_wgs_204_tpt_68_halfLds_dp_ip_CI_unitstride_sbrr_R2C_dirReg
	.p2align	8
	.type	fft_rtc_back_len884_factors_13_4_17_wgs_204_tpt_68_halfLds_dp_ip_CI_unitstride_sbrr_R2C_dirReg,@function
fft_rtc_back_len884_factors_13_4_17_wgs_204_tpt_68_halfLds_dp_ip_CI_unitstride_sbrr_R2C_dirReg: ; @fft_rtc_back_len884_factors_13_4_17_wgs_204_tpt_68_halfLds_dp_ip_CI_unitstride_sbrr_R2C_dirReg
; %bb.0:
	s_load_b128 s[4:7], s[0:1], 0x0
	v_mul_u32_u24_e32 v1, 0x3c4, v0
	s_clause 0x1
	s_load_b64 s[8:9], s[0:1], 0x50
	s_load_b64 s[10:11], s[0:1], 0x18
	v_mov_b32_e32 v3, 0
	v_lshrrev_b32_e32 v4, 16, v1
	s_delay_alu instid0(VALU_DEP_1) | instskip(SKIP_3) | instid1(VALU_DEP_1)
	v_mad_u64_u32 v[1:2], null, s15, 3, v[4:5]
	v_mov_b32_e32 v5, 0
	v_mov_b32_e32 v6, 0
	;; [unrolled: 1-line block ×4, first 2 shown]
	s_waitcnt lgkmcnt(0)
	v_cmp_lt_u64_e64 s2, s[6:7], 2
	v_mov_b32_e32 v9, v1
	s_delay_alu instid0(VALU_DEP_2)
	s_and_b32 vcc_lo, exec_lo, s2
	s_cbranch_vccnz .LBB0_8
; %bb.1:
	s_load_b64 s[2:3], s[0:1], 0x10
	v_dual_mov_b32 v5, 0 :: v_dual_mov_b32 v8, v2
	s_add_u32 s12, s10, 8
	v_dual_mov_b32 v6, 0 :: v_dual_mov_b32 v7, v1
	s_addc_u32 s13, s11, 0
	s_mov_b64 s[16:17], 1
	s_waitcnt lgkmcnt(0)
	s_add_u32 s14, s2, 8
	s_addc_u32 s15, s3, 0
.LBB0_2:                                ; =>This Inner Loop Header: Depth=1
	s_load_b64 s[18:19], s[14:15], 0x0
                                        ; implicit-def: $vgpr9_vgpr10
	s_mov_b32 s2, exec_lo
	s_waitcnt lgkmcnt(0)
	v_or_b32_e32 v4, s19, v8
	s_delay_alu instid0(VALU_DEP_1)
	v_cmpx_ne_u64_e32 0, v[3:4]
	s_xor_b32 s3, exec_lo, s2
	s_cbranch_execz .LBB0_4
; %bb.3:                                ;   in Loop: Header=BB0_2 Depth=1
	v_cvt_f32_u32_e32 v2, s18
	v_cvt_f32_u32_e32 v4, s19
	s_sub_u32 s2, 0, s18
	s_subb_u32 s20, 0, s19
	s_delay_alu instid0(VALU_DEP_1) | instskip(NEXT) | instid1(VALU_DEP_1)
	v_fmac_f32_e32 v2, 0x4f800000, v4
	v_rcp_f32_e32 v2, v2
	s_waitcnt_depctr 0xfff
	v_mul_f32_e32 v2, 0x5f7ffffc, v2
	s_delay_alu instid0(VALU_DEP_1) | instskip(NEXT) | instid1(VALU_DEP_1)
	v_mul_f32_e32 v4, 0x2f800000, v2
	v_trunc_f32_e32 v4, v4
	s_delay_alu instid0(VALU_DEP_1) | instskip(SKIP_1) | instid1(VALU_DEP_2)
	v_fmac_f32_e32 v2, 0xcf800000, v4
	v_cvt_u32_f32_e32 v4, v4
	v_cvt_u32_f32_e32 v2, v2
	s_delay_alu instid0(VALU_DEP_2) | instskip(NEXT) | instid1(VALU_DEP_2)
	v_mul_lo_u32 v9, s2, v4
	v_mul_hi_u32 v10, s2, v2
	v_mul_lo_u32 v11, s20, v2
	s_delay_alu instid0(VALU_DEP_2) | instskip(SKIP_1) | instid1(VALU_DEP_2)
	v_add_nc_u32_e32 v9, v10, v9
	v_mul_lo_u32 v10, s2, v2
	v_add_nc_u32_e32 v9, v9, v11
	s_delay_alu instid0(VALU_DEP_2) | instskip(NEXT) | instid1(VALU_DEP_2)
	v_mul_hi_u32 v11, v2, v10
	v_mul_lo_u32 v12, v2, v9
	v_mul_hi_u32 v13, v2, v9
	v_mul_hi_u32 v14, v4, v10
	v_mul_lo_u32 v10, v4, v10
	v_mul_hi_u32 v15, v4, v9
	v_mul_lo_u32 v9, v4, v9
	v_add_co_u32 v11, vcc_lo, v11, v12
	v_add_co_ci_u32_e32 v12, vcc_lo, 0, v13, vcc_lo
	s_delay_alu instid0(VALU_DEP_2) | instskip(NEXT) | instid1(VALU_DEP_2)
	v_add_co_u32 v10, vcc_lo, v11, v10
	v_add_co_ci_u32_e32 v10, vcc_lo, v12, v14, vcc_lo
	v_add_co_ci_u32_e32 v11, vcc_lo, 0, v15, vcc_lo
	s_delay_alu instid0(VALU_DEP_2) | instskip(NEXT) | instid1(VALU_DEP_2)
	v_add_co_u32 v9, vcc_lo, v10, v9
	v_add_co_ci_u32_e32 v10, vcc_lo, 0, v11, vcc_lo
	s_delay_alu instid0(VALU_DEP_2) | instskip(NEXT) | instid1(VALU_DEP_2)
	v_add_co_u32 v2, vcc_lo, v2, v9
	v_add_co_ci_u32_e32 v4, vcc_lo, v4, v10, vcc_lo
	s_delay_alu instid0(VALU_DEP_2) | instskip(SKIP_1) | instid1(VALU_DEP_3)
	v_mul_hi_u32 v9, s2, v2
	v_mul_lo_u32 v11, s20, v2
	v_mul_lo_u32 v10, s2, v4
	s_delay_alu instid0(VALU_DEP_1) | instskip(SKIP_1) | instid1(VALU_DEP_2)
	v_add_nc_u32_e32 v9, v9, v10
	v_mul_lo_u32 v10, s2, v2
	v_add_nc_u32_e32 v9, v9, v11
	s_delay_alu instid0(VALU_DEP_2) | instskip(NEXT) | instid1(VALU_DEP_2)
	v_mul_hi_u32 v11, v2, v10
	v_mul_lo_u32 v12, v2, v9
	v_mul_hi_u32 v13, v2, v9
	v_mul_hi_u32 v14, v4, v10
	v_mul_lo_u32 v10, v4, v10
	v_mul_hi_u32 v15, v4, v9
	v_mul_lo_u32 v9, v4, v9
	v_add_co_u32 v11, vcc_lo, v11, v12
	v_add_co_ci_u32_e32 v12, vcc_lo, 0, v13, vcc_lo
	s_delay_alu instid0(VALU_DEP_2) | instskip(NEXT) | instid1(VALU_DEP_2)
	v_add_co_u32 v10, vcc_lo, v11, v10
	v_add_co_ci_u32_e32 v10, vcc_lo, v12, v14, vcc_lo
	v_add_co_ci_u32_e32 v11, vcc_lo, 0, v15, vcc_lo
	s_delay_alu instid0(VALU_DEP_2) | instskip(NEXT) | instid1(VALU_DEP_2)
	v_add_co_u32 v9, vcc_lo, v10, v9
	v_add_co_ci_u32_e32 v10, vcc_lo, 0, v11, vcc_lo
	s_delay_alu instid0(VALU_DEP_2) | instskip(NEXT) | instid1(VALU_DEP_2)
	v_add_co_u32 v2, vcc_lo, v2, v9
	v_add_co_ci_u32_e32 v4, vcc_lo, v4, v10, vcc_lo
	s_delay_alu instid0(VALU_DEP_2) | instskip(SKIP_1) | instid1(VALU_DEP_3)
	v_mul_hi_u32 v15, v7, v2
	v_mad_u64_u32 v[11:12], null, v8, v2, 0
	v_mad_u64_u32 v[9:10], null, v7, v4, 0
	;; [unrolled: 1-line block ×3, first 2 shown]
	s_delay_alu instid0(VALU_DEP_2) | instskip(NEXT) | instid1(VALU_DEP_3)
	v_add_co_u32 v2, vcc_lo, v15, v9
	v_add_co_ci_u32_e32 v4, vcc_lo, 0, v10, vcc_lo
	s_delay_alu instid0(VALU_DEP_2) | instskip(NEXT) | instid1(VALU_DEP_2)
	v_add_co_u32 v2, vcc_lo, v2, v11
	v_add_co_ci_u32_e32 v2, vcc_lo, v4, v12, vcc_lo
	v_add_co_ci_u32_e32 v4, vcc_lo, 0, v14, vcc_lo
	s_delay_alu instid0(VALU_DEP_2) | instskip(NEXT) | instid1(VALU_DEP_2)
	v_add_co_u32 v2, vcc_lo, v2, v13
	v_add_co_ci_u32_e32 v4, vcc_lo, 0, v4, vcc_lo
	s_delay_alu instid0(VALU_DEP_2) | instskip(SKIP_1) | instid1(VALU_DEP_3)
	v_mul_lo_u32 v11, s19, v2
	v_mad_u64_u32 v[9:10], null, s18, v2, 0
	v_mul_lo_u32 v12, s18, v4
	s_delay_alu instid0(VALU_DEP_2) | instskip(NEXT) | instid1(VALU_DEP_2)
	v_sub_co_u32 v9, vcc_lo, v7, v9
	v_add3_u32 v10, v10, v12, v11
	s_delay_alu instid0(VALU_DEP_1) | instskip(NEXT) | instid1(VALU_DEP_1)
	v_sub_nc_u32_e32 v11, v8, v10
	v_subrev_co_ci_u32_e64 v11, s2, s19, v11, vcc_lo
	v_add_co_u32 v12, s2, v2, 2
	s_delay_alu instid0(VALU_DEP_1) | instskip(SKIP_3) | instid1(VALU_DEP_3)
	v_add_co_ci_u32_e64 v13, s2, 0, v4, s2
	v_sub_co_u32 v14, s2, v9, s18
	v_sub_co_ci_u32_e32 v10, vcc_lo, v8, v10, vcc_lo
	v_subrev_co_ci_u32_e64 v11, s2, 0, v11, s2
	v_cmp_le_u32_e32 vcc_lo, s18, v14
	s_delay_alu instid0(VALU_DEP_3) | instskip(SKIP_1) | instid1(VALU_DEP_4)
	v_cmp_eq_u32_e64 s2, s19, v10
	v_cndmask_b32_e64 v14, 0, -1, vcc_lo
	v_cmp_le_u32_e32 vcc_lo, s19, v11
	v_cndmask_b32_e64 v15, 0, -1, vcc_lo
	v_cmp_le_u32_e32 vcc_lo, s18, v9
	;; [unrolled: 2-line block ×3, first 2 shown]
	v_cndmask_b32_e64 v16, 0, -1, vcc_lo
	v_cmp_eq_u32_e32 vcc_lo, s19, v11
	s_delay_alu instid0(VALU_DEP_2) | instskip(SKIP_3) | instid1(VALU_DEP_3)
	v_cndmask_b32_e64 v9, v16, v9, s2
	v_cndmask_b32_e32 v11, v15, v14, vcc_lo
	v_add_co_u32 v14, vcc_lo, v2, 1
	v_add_co_ci_u32_e32 v15, vcc_lo, 0, v4, vcc_lo
	v_cmp_ne_u32_e32 vcc_lo, 0, v11
	s_delay_alu instid0(VALU_DEP_2) | instskip(SKIP_1) | instid1(VALU_DEP_2)
	v_dual_cndmask_b32 v10, v15, v13 :: v_dual_cndmask_b32 v11, v14, v12
	v_cmp_ne_u32_e32 vcc_lo, 0, v9
	v_dual_cndmask_b32 v10, v4, v10 :: v_dual_cndmask_b32 v9, v2, v11
.LBB0_4:                                ;   in Loop: Header=BB0_2 Depth=1
	s_and_not1_saveexec_b32 s2, s3
	s_cbranch_execz .LBB0_6
; %bb.5:                                ;   in Loop: Header=BB0_2 Depth=1
	v_cvt_f32_u32_e32 v2, s18
	s_sub_i32 s3, 0, s18
	s_delay_alu instid0(VALU_DEP_1) | instskip(SKIP_2) | instid1(VALU_DEP_1)
	v_rcp_iflag_f32_e32 v2, v2
	s_waitcnt_depctr 0xfff
	v_mul_f32_e32 v2, 0x4f7ffffe, v2
	v_cvt_u32_f32_e32 v2, v2
	s_delay_alu instid0(VALU_DEP_1) | instskip(NEXT) | instid1(VALU_DEP_1)
	v_mul_lo_u32 v4, s3, v2
	v_mul_hi_u32 v4, v2, v4
	s_delay_alu instid0(VALU_DEP_1) | instskip(NEXT) | instid1(VALU_DEP_1)
	v_add_nc_u32_e32 v2, v2, v4
	v_mul_hi_u32 v2, v7, v2
	s_delay_alu instid0(VALU_DEP_1) | instskip(SKIP_1) | instid1(VALU_DEP_2)
	v_mul_lo_u32 v4, v2, s18
	v_add_nc_u32_e32 v9, 1, v2
	v_sub_nc_u32_e32 v4, v7, v4
	s_delay_alu instid0(VALU_DEP_1) | instskip(SKIP_1) | instid1(VALU_DEP_2)
	v_subrev_nc_u32_e32 v10, s18, v4
	v_cmp_le_u32_e32 vcc_lo, s18, v4
	v_cndmask_b32_e32 v4, v4, v10, vcc_lo
	v_mov_b32_e32 v10, v3
	v_cndmask_b32_e32 v2, v2, v9, vcc_lo
	s_delay_alu instid0(VALU_DEP_3) | instskip(NEXT) | instid1(VALU_DEP_2)
	v_cmp_le_u32_e32 vcc_lo, s18, v4
	v_add_nc_u32_e32 v9, 1, v2
	s_delay_alu instid0(VALU_DEP_1)
	v_cndmask_b32_e32 v9, v2, v9, vcc_lo
.LBB0_6:                                ;   in Loop: Header=BB0_2 Depth=1
	s_or_b32 exec_lo, exec_lo, s2
	s_load_b64 s[2:3], s[12:13], 0x0
	v_mul_lo_u32 v2, v10, s18
	s_delay_alu instid0(VALU_DEP_2)
	v_mul_lo_u32 v4, v9, s19
	v_mad_u64_u32 v[11:12], null, v9, s18, 0
	s_add_u32 s16, s16, 1
	s_addc_u32 s17, s17, 0
	s_add_u32 s12, s12, 8
	s_addc_u32 s13, s13, 0
	;; [unrolled: 2-line block ×3, first 2 shown]
	s_delay_alu instid0(VALU_DEP_1) | instskip(SKIP_1) | instid1(VALU_DEP_2)
	v_add3_u32 v2, v12, v4, v2
	v_sub_co_u32 v4, vcc_lo, v7, v11
	v_sub_co_ci_u32_e32 v2, vcc_lo, v8, v2, vcc_lo
	s_waitcnt lgkmcnt(0)
	s_delay_alu instid0(VALU_DEP_2) | instskip(NEXT) | instid1(VALU_DEP_2)
	v_mul_lo_u32 v11, s3, v4
	v_mul_lo_u32 v2, s2, v2
	v_mad_u64_u32 v[7:8], null, s2, v4, v[5:6]
	v_cmp_ge_u64_e64 s2, s[16:17], s[6:7]
	s_delay_alu instid0(VALU_DEP_1) | instskip(NEXT) | instid1(VALU_DEP_2)
	s_and_b32 vcc_lo, exec_lo, s2
	v_add3_u32 v6, v11, v8, v2
	s_delay_alu instid0(VALU_DEP_3)
	v_mov_b32_e32 v5, v7
	s_cbranch_vccnz .LBB0_8
; %bb.7:                                ;   in Loop: Header=BB0_2 Depth=1
	v_dual_mov_b32 v7, v9 :: v_dual_mov_b32 v8, v10
	s_branch .LBB0_2
.LBB0_8:
	s_lshl_b64 s[2:3], s[6:7], 3
	v_mul_hi_u32 v2, 0xaaaaaaab, v1
	s_add_u32 s2, s10, s2
	s_addc_u32 s3, s11, s3
	v_mul_hi_u32 v3, 0x3c3c3c4, v0
	s_load_b64 s[2:3], s[2:3], 0x0
	s_load_b64 s[0:1], s[0:1], 0x20
	s_delay_alu instid0(VALU_DEP_2) | instskip(NEXT) | instid1(VALU_DEP_2)
	v_lshrrev_b32_e32 v2, 1, v2
	v_mul_u32_u24_e32 v3, 0x44, v3
	s_delay_alu instid0(VALU_DEP_2) | instskip(NEXT) | instid1(VALU_DEP_2)
	v_lshl_add_u32 v4, v2, 1, v2
	v_sub_nc_u32_e32 v68, v0, v3
	s_delay_alu instid0(VALU_DEP_2) | instskip(NEXT) | instid1(VALU_DEP_2)
	v_sub_nc_u32_e32 v0, v1, v4
	v_add_nc_u32_e32 v72, 0x44, v68
	v_add_nc_u32_e32 v75, 0x88, v68
	;; [unrolled: 1-line block ×3, first 2 shown]
	s_waitcnt lgkmcnt(0)
	v_mul_lo_u32 v7, s2, v10
	v_mul_lo_u32 v8, s3, v9
	v_mad_u64_u32 v[2:3], null, s2, v9, v[5:6]
	v_cmp_gt_u64_e32 vcc_lo, s[0:1], v[9:10]
	v_cmp_le_u64_e64 s0, s[0:1], v[9:10]
	s_delay_alu instid0(VALU_DEP_3) | instskip(NEXT) | instid1(VALU_DEP_2)
	v_add3_u32 v3, v8, v3, v7
	s_and_saveexec_b32 s1, s0
	s_delay_alu instid0(SALU_CYCLE_1)
	s_xor_b32 s0, exec_lo, s1
; %bb.9:
	v_add_nc_u32_e32 v72, 0x44, v68
	v_add_nc_u32_e32 v75, 0x88, v68
	;; [unrolled: 1-line block ×3, first 2 shown]
; %bb.10:
	s_or_saveexec_b32 s1, s0
	v_mul_u32_u24_e32 v0, 0x375, v0
	v_lshlrev_b64 v[70:71], 4, v[2:3]
	v_lshlrev_b32_e32 v73, 4, v68
	s_delay_alu instid0(VALU_DEP_3)
	v_lshlrev_b32_e32 v76, 4, v0
	s_xor_b32 exec_lo, exec_lo, s1
	s_cbranch_execz .LBB0_12
; %bb.11:
	v_mov_b32_e32 v69, 0
	v_add_co_u32 v2, s0, s8, v70
	s_delay_alu instid0(VALU_DEP_1) | instskip(NEXT) | instid1(VALU_DEP_3)
	v_add_co_ci_u32_e64 v3, s0, s9, v71, s0
	v_lshlrev_b64 v[0:1], 4, v[68:69]
	v_add3_u32 v52, 0, v76, v73
	s_delay_alu instid0(VALU_DEP_2) | instskip(NEXT) | instid1(VALU_DEP_1)
	v_add_co_u32 v32, s0, v2, v0
	v_add_co_ci_u32_e64 v33, s0, v3, v1, s0
	s_delay_alu instid0(VALU_DEP_2) | instskip(NEXT) | instid1(VALU_DEP_1)
	v_add_co_u32 v28, s0, 0x1000, v32
	v_add_co_ci_u32_e64 v29, s0, 0, v33, s0
	v_add_co_u32 v44, s0, 0x2000, v32
	s_delay_alu instid0(VALU_DEP_1) | instskip(SKIP_1) | instid1(VALU_DEP_1)
	v_add_co_ci_u32_e64 v45, s0, 0, v33, s0
	v_add_co_u32 v48, s0, 0x3000, v32
	v_add_co_ci_u32_e64 v49, s0, 0, v33, s0
	s_clause 0xc
	global_load_b128 v[0:3], v[32:33], off
	global_load_b128 v[4:7], v[32:33], off offset:1088
	global_load_b128 v[8:11], v[32:33], off offset:2176
	global_load_b128 v[12:15], v[32:33], off offset:3264
	global_load_b128 v[16:19], v[28:29], off offset:256
	global_load_b128 v[20:23], v[28:29], off offset:1344
	global_load_b128 v[24:27], v[28:29], off offset:2432
	global_load_b128 v[28:31], v[28:29], off offset:3520
	global_load_b128 v[32:35], v[44:45], off offset:512
	global_load_b128 v[36:39], v[44:45], off offset:1600
	global_load_b128 v[40:43], v[44:45], off offset:2688
	global_load_b128 v[44:47], v[44:45], off offset:3776
	global_load_b128 v[48:51], v[48:49], off offset:768
	s_waitcnt vmcnt(12)
	ds_store_b128 v52, v[0:3]
	s_waitcnt vmcnt(11)
	ds_store_b128 v52, v[4:7] offset:1088
	s_waitcnt vmcnt(10)
	ds_store_b128 v52, v[8:11] offset:2176
	s_waitcnt vmcnt(9)
	ds_store_b128 v52, v[12:15] offset:3264
	s_waitcnt vmcnt(8)
	ds_store_b128 v52, v[16:19] offset:4352
	s_waitcnt vmcnt(7)
	ds_store_b128 v52, v[20:23] offset:5440
	s_waitcnt vmcnt(6)
	ds_store_b128 v52, v[24:27] offset:6528
	s_waitcnt vmcnt(5)
	ds_store_b128 v52, v[28:31] offset:7616
	s_waitcnt vmcnt(4)
	ds_store_b128 v52, v[32:35] offset:8704
	s_waitcnt vmcnt(3)
	ds_store_b128 v52, v[36:39] offset:9792
	s_waitcnt vmcnt(2)
	ds_store_b128 v52, v[40:43] offset:10880
	s_waitcnt vmcnt(1)
	ds_store_b128 v52, v[44:47] offset:11968
	s_waitcnt vmcnt(0)
	ds_store_b128 v52, v[48:51] offset:13056
.LBB0_12:
	s_or_b32 exec_lo, exec_lo, s1
	s_delay_alu instid0(VALU_DEP_1)
	v_add_nc_u32_e32 v193, 0, v76
	v_add3_u32 v69, 0, v73, v76
	s_waitcnt lgkmcnt(0)
	s_barrier
	buffer_gl0_inv
	v_add_nc_u32_e32 v192, v193, v73
	s_mov_b32 s10, 0x42a4c3d2
	s_mov_b32 s2, 0x1ea71119
	;; [unrolled: 1-line block ×4, first 2 shown]
	ds_load_b128 v[12:15], v192
	ds_load_b128 v[28:31], v69 offset:1088
	ds_load_b128 v[36:39], v69 offset:2176
	;; [unrolled: 1-line block ×5, first 2 shown]
	s_mov_b32 s20, 0x66966769
	s_mov_b32 s6, 0xebaa3ed8
	;; [unrolled: 1-line block ×16, first 2 shown]
	s_waitcnt lgkmcnt(4)
	v_add_f64 v[2:3], v[14:15], v[30:31]
	v_add_f64 v[0:1], v[12:13], v[28:29]
	s_mov_b32 s15, 0xbfddbe06
	s_mov_b32 s1, 0x3fec55a7
	;; [unrolled: 1-line block ×16, first 2 shown]
	s_waitcnt lgkmcnt(3)
	s_delay_alu instid0(VALU_DEP_2) | instskip(NEXT) | instid1(VALU_DEP_2)
	v_add_f64 v[2:3], v[2:3], v[38:39]
	v_add_f64 v[0:1], v[0:1], v[36:37]
	s_waitcnt lgkmcnt(2)
	s_delay_alu instid0(VALU_DEP_2) | instskip(NEXT) | instid1(VALU_DEP_2)
	v_add_f64 v[2:3], v[2:3], v[34:35]
	v_add_f64 v[0:1], v[0:1], v[32:33]
	;; [unrolled: 4-line block ×3, first 2 shown]
	ds_load_b128 v[4:7], v69 offset:10880
	ds_load_b128 v[0:3], v69 offset:11968
	;; [unrolled: 1-line block ×7, first 2 shown]
	s_waitcnt lgkmcnt(0)
	s_barrier
	buffer_gl0_inv
	v_add_f64 v[60:61], v[34:35], -v[6:7]
	v_add_f64 v[48:49], v[38:39], -v[2:3]
	v_add_f64 v[44:45], v[38:39], v[2:3]
	v_add_f64 v[56:57], v[66:67], -v[26:27]
	v_add_f64 v[89:90], v[30:31], -v[10:11]
	v_add_f64 v[91:92], v[30:31], v[10:11]
	v_add_f64 v[50:51], v[66:67], v[26:27]
	;; [unrolled: 1-line block ×3, first 2 shown]
	v_add_f64 v[99:100], v[28:29], -v[8:9]
	v_add_f64 v[58:59], v[34:35], v[6:7]
	v_add_f64 v[83:84], v[36:37], v[0:1]
	v_add_f64 v[85:86], v[36:37], -v[0:1]
	v_add_f64 v[79:80], v[42:43], -v[18:19]
	v_add_f64 v[34:35], v[42:43], v[18:19]
	v_add_f64 v[46:47], v[54:55], -v[22:23]
	v_add_f64 v[42:43], v[54:55], v[22:23]
	v_add_f64 v[87:88], v[32:33], v[4:5]
	;; [unrolled: 1-line block ×4, first 2 shown]
	v_add_f64 v[93:94], v[32:33], -v[4:5]
	v_add_f64 v[32:33], v[64:65], v[24:25]
	v_add_f64 v[30:31], v[64:65], -v[24:25]
	v_add_f64 v[95:96], v[40:41], v[16:17]
	v_add_f64 v[40:41], v[40:41], -v[16:17]
	v_add_f64 v[38:39], v[52:53], v[20:21]
	v_add_f64 v[36:37], v[52:53], -v[20:21]
	v_mul_f64 v[105:106], v[60:61], s[22:23]
	v_mul_f64 v[101:102], v[48:49], s[12:13]
	;; [unrolled: 1-line block ×17, first 2 shown]
	v_add_f64 v[66:67], v[77:78], v[66:67]
	v_add_f64 v[81:82], v[81:82], v[64:65]
	v_mul_f64 v[127:128], v[48:49], s[38:39]
	v_mul_f64 v[129:130], v[44:45], s[24:25]
	;; [unrolled: 1-line block ×21, first 2 shown]
	v_fma_f64 v[177:178], v[87:88], s[26:27], v[105:106]
	v_fma_f64 v[183:184], v[83:84], s[26:27], v[113:114]
	;; [unrolled: 1-line block ×14, first 2 shown]
	v_fma_f64 v[139:140], v[97:98], s[0:1], -v[139:140]
	v_add_f64 v[26:27], v[66:67], v[26:27]
	v_fma_f64 v[141:142], v[99:100], s[14:15], v[141:142]
	v_fma_f64 v[147:148], v[97:98], s[2:3], -v[147:148]
	v_fma_f64 v[149:150], v[99:100], s[10:11], v[149:150]
	v_fma_f64 v[155:156], v[97:98], s[6:7], -v[155:156]
	;; [unrolled: 2-line block ×5, first 2 shown]
	v_fma_f64 v[91:92], v[99:100], s[22:23], v[91:92]
	v_add_f64 v[24:25], v[81:82], v[24:25]
	v_fma_f64 v[66:67], v[83:84], s[16:17], v[101:102]
	v_fma_f64 v[81:82], v[85:86], s[40:41], v[103:104]
	v_fma_f64 v[185:186], v[85:86], s[36:37], v[115:116]
	v_fma_f64 v[97:98], v[83:84], s[24:25], v[127:128]
	v_fma_f64 v[99:100], v[85:86], s[18:19], v[129:130]
	v_fma_f64 v[222:223], v[83:84], s[6:7], v[137:138]
	v_fma_f64 v[224:225], v[85:86], s[20:21], v[143:144]
	v_fma_f64 v[232:233], v[83:84], s[0:1], v[159:160]
	v_fma_f64 v[234:235], v[85:86], s[14:15], v[161:162]
	v_fma_f64 v[101:102], v[83:84], s[16:17], -v[101:102]
	v_fma_f64 v[113:114], v[83:84], s[26:27], -v[113:114]
	;; [unrolled: 1-line block ×3, first 2 shown]
	v_add_f64 v[200:201], v[12:13], v[200:201]
	v_add_f64 v[202:203], v[14:15], v[202:203]
	;; [unrolled: 1-line block ×25, first 2 shown]
	v_fma_f64 v[137:138], v[83:84], s[6:7], -v[137:138]
	v_fma_f64 v[103:104], v[85:86], s[12:13], v[103:104]
	v_fma_f64 v[115:116], v[85:86], s[22:23], v[115:116]
	;; [unrolled: 1-line block ×5, first 2 shown]
	v_mul_f64 v[121:122], v[79:80], s[34:35]
	v_mul_f64 v[77:78], v[34:35], s[0:1]
	v_fma_f64 v[187:188], v[87:88], s[16:17], v[117:118]
	v_fma_f64 v[189:190], v[93:94], s[12:13], v[119:120]
	v_mul_f64 v[135:136], v[79:80], s[20:21]
	v_add_f64 v[20:21], v[24:25], v[20:21]
	v_fma_f64 v[24:25], v[87:88], s[0:1], v[131:132]
	v_add_f64 v[66:67], v[66:67], v[200:201]
	v_add_f64 v[81:82], v[81:82], v[202:203]
	;; [unrolled: 1-line block ×4, first 2 shown]
	v_fma_f64 v[26:27], v[93:94], s[14:15], v[133:134]
	v_mul_f64 v[200:201], v[34:35], s[6:7]
	v_add_f64 v[97:98], v[97:98], v[208:209]
	v_add_f64 v[99:100], v[99:100], v[210:211]
	v_mul_f64 v[153:154], v[79:80], s[36:37]
	v_fma_f64 v[226:227], v[87:88], s[2:3], v[145:146]
	v_fma_f64 v[228:229], v[93:94], s[30:31], v[151:152]
	v_mul_f64 v[210:211], v[34:35], s[26:27]
	v_add_f64 v[212:213], v[222:223], v[212:213]
	v_add_f64 v[18:19], v[22:23], v[18:19]
	v_fma_f64 v[22:23], v[83:84], s[2:3], v[48:49]
	v_fma_f64 v[48:49], v[83:84], s[2:3], -v[48:49]
	v_fma_f64 v[83:84], v[83:84], s[0:1], -v[159:160]
	v_fma_f64 v[159:160], v[85:86], s[30:31], v[44:45]
	v_fma_f64 v[44:45], v[85:86], s[10:11], v[44:45]
	;; [unrolled: 1-line block ×3, first 2 shown]
	v_add_f64 v[214:215], v[224:225], v[214:215]
	v_mul_f64 v[175:176], v[79:80], s[30:31]
	v_fma_f64 v[89:90], v[87:88], s[24:25], v[167:168]
	v_fma_f64 v[91:92], v[93:94], s[38:39], v[169:170]
	v_add_f64 v[216:217], v[232:233], v[216:217]
	v_add_f64 v[218:219], v[234:235], v[218:219]
	v_mul_f64 v[79:80], v[79:80], s[12:13]
	v_fma_f64 v[161:162], v[87:88], s[6:7], v[60:61]
	v_fma_f64 v[60:61], v[87:88], s[6:7], -v[60:61]
	v_fma_f64 v[105:106], v[87:88], s[26:27], -v[105:106]
	v_fma_f64 v[117:118], v[87:88], s[16:17], -v[117:118]
	v_fma_f64 v[131:132], v[87:88], s[0:1], -v[131:132]
	v_fma_f64 v[145:146], v[87:88], s[2:3], -v[145:146]
	v_fma_f64 v[87:88], v[87:88], s[24:25], -v[167:168]
	v_fma_f64 v[167:168], v[93:94], s[28:29], v[58:59]
	v_fma_f64 v[58:59], v[93:94], s[20:21], v[58:59]
	;; [unrolled: 1-line block ×7, first 2 shown]
	v_add_f64 v[101:102], v[101:102], v[147:148]
	v_add_f64 v[113:114], v[113:114], v[155:156]
	;; [unrolled: 1-line block ×8, first 2 shown]
	v_mul_f64 v[62:63], v[46:47], s[28:29]
	v_mul_f64 v[54:55], v[42:43], s[6:7]
	v_fma_f64 v[181:182], v[95:96], s[24:25], v[109:110]
	v_add_f64 v[22:23], v[22:23], v[196:197]
	v_mul_f64 v[196:197], v[34:35], s[2:3]
	v_add_f64 v[48:49], v[48:49], v[139:140]
	v_mul_f64 v[34:35], v[34:35], s[16:17]
	v_add_f64 v[12:13], v[83:84], v[12:13]
	v_add_f64 v[14:15], v[85:86], v[14:15]
	;; [unrolled: 1-line block ×4, first 2 shown]
	v_fma_f64 v[149:150], v[40:41], s[18:19], v[111:112]
	v_add_f64 v[66:67], v[177:178], v[66:67]
	v_add_f64 v[81:82], v[179:180], v[81:82]
	v_mul_f64 v[123:124], v[46:47], s[10:11]
	v_mul_f64 v[125:126], v[42:43], s[2:3]
	v_fma_f64 v[194:195], v[95:96], s[0:1], v[121:122]
	v_fma_f64 v[171:172], v[40:41], s[14:15], v[77:78]
	v_add_f64 v[183:184], v[187:188], v[183:184]
	v_add_f64 v[185:186], v[189:190], v[185:186]
	v_fma_f64 v[220:221], v[95:96], s[6:7], v[135:136]
	v_mul_f64 v[202:203], v[46:47], s[36:37]
	v_mul_f64 v[204:205], v[42:43], s[26:27]
	v_fma_f64 v[179:180], v[40:41], s[28:29], v[200:201]
	v_add_f64 v[24:25], v[24:25], v[97:98]
	v_add_f64 v[26:27], v[26:27], v[99:100]
	v_fma_f64 v[230:231], v[95:96], s[26:27], v[153:154]
	v_mul_f64 v[222:223], v[46:47], s[34:35]
	v_mul_f64 v[224:225], v[42:43], s[0:1]
	v_add_f64 v[212:213], v[226:227], v[212:213]
	v_fma_f64 v[226:227], v[40:41], s[22:23], v[210:211]
	v_add_f64 v[214:215], v[228:229], v[214:215]
	v_add_f64 v[16:17], v[20:21], v[16:17]
	v_fma_f64 v[20:21], v[95:96], s[2:3], v[175:176]
	v_mul_f64 v[198:199], v[46:47], s[12:13]
	v_mul_f64 v[139:140], v[42:43], s[16:17]
	v_add_f64 v[89:90], v[89:90], v[216:217]
	v_add_f64 v[91:92], v[91:92], v[218:219]
	v_fma_f64 v[169:170], v[95:96], s[16:17], v[79:80]
	v_fma_f64 v[79:80], v[95:96], s[16:17], -v[79:80]
	v_fma_f64 v[109:110], v[95:96], s[24:25], -v[109:110]
	;; [unrolled: 1-line block ×3, first 2 shown]
	v_fma_f64 v[216:217], v[40:41], s[10:11], v[196:197]
	v_fma_f64 v[135:136], v[95:96], s[6:7], -v[135:136]
	v_fma_f64 v[153:154], v[95:96], s[26:27], -v[153:154]
	;; [unrolled: 1-line block ×3, first 2 shown]
	v_mul_f64 v[46:47], v[46:47], s[18:19]
	v_mul_f64 v[42:43], v[42:43], s[24:25]
	v_fma_f64 v[218:219], v[40:41], s[40:41], v[34:35]
	v_fma_f64 v[34:35], v[40:41], s[12:13], v[34:35]
	v_fma_f64 v[111:112], v[40:41], s[38:39], v[111:112]
	v_fma_f64 v[77:78], v[40:41], s[34:35], v[77:78]
	v_fma_f64 v[200:201], v[40:41], s[20:21], v[200:201]
	v_fma_f64 v[210:211], v[40:41], s[36:37], v[210:211]
	v_fma_f64 v[40:41], v[40:41], s[30:31], v[196:197]
	v_add_f64 v[48:49], v[60:61], v[48:49]
	v_add_f64 v[101:102], v[105:106], v[101:102]
	;; [unrolled: 1-line block ×14, first 2 shown]
	v_mul_f64 v[52:53], v[56:57], s[34:35]
	v_mul_f64 v[28:29], v[50:51], s[0:1]
	v_fma_f64 v[155:156], v[38:39], s[6:7], v[62:63]
	v_fma_f64 v[157:158], v[36:37], s[20:21], v[54:55]
	v_add_f64 v[66:67], v[181:182], v[66:67]
	v_add_f64 v[81:82], v[149:150], v[81:82]
	v_mul_f64 v[64:65], v[56:57], s[18:19]
	v_mul_f64 v[175:176], v[50:51], s[24:25]
	v_fma_f64 v[173:174], v[38:39], s[2:3], v[123:124]
	v_fma_f64 v[83:84], v[36:37], s[30:31], v[125:126]
	v_add_f64 v[107:108], v[194:195], v[183:184]
	v_add_f64 v[119:120], v[171:172], v[185:186]
	;; [unrolled: 6-line block ×5, first 2 shown]
	v_mul_f64 v[56:57], v[56:57], s[22:23]
	v_mul_f64 v[50:51], v[50:51], s[26:27]
	v_fma_f64 v[93:94], v[38:39], s[24:25], v[46:47]
	v_fma_f64 v[46:47], v[38:39], s[24:25], -v[46:47]
	v_fma_f64 v[62:63], v[38:39], s[6:7], -v[62:63]
	;; [unrolled: 1-line block ×3, first 2 shown]
	v_add_f64 v[4:5], v[16:17], v[4:5]
	v_add_f64 v[6:7], v[18:19], v[6:7]
	v_fma_f64 v[16:17], v[38:39], s[26:27], -v[202:203]
	v_fma_f64 v[18:19], v[38:39], s[0:1], -v[222:223]
	;; [unrolled: 1-line block ×3, first 2 shown]
	v_fma_f64 v[91:92], v[36:37], s[38:39], v[42:43]
	v_fma_f64 v[42:43], v[36:37], s[18:19], v[42:43]
	;; [unrolled: 1-line block ×7, first 2 shown]
	v_add_f64 v[48:49], v[79:80], v[48:49]
	v_add_f64 v[79:80], v[109:110], v[101:102]
	;; [unrolled: 1-line block ×14, first 2 shown]
	v_fma_f64 v[163:164], v[32:33], s[0:1], v[52:53]
	v_fma_f64 v[165:166], v[30:31], s[14:15], v[28:29]
	v_add_f64 v[58:59], v[155:156], v[66:67]
	v_add_f64 v[66:67], v[157:158], v[81:82]
	v_fma_f64 v[85:86], v[32:33], s[24:25], v[64:65]
	v_fma_f64 v[177:178], v[30:31], s[38:39], v[175:176]
	v_add_f64 v[81:82], v[173:174], v[107:108]
	v_add_f64 v[83:84], v[83:84], v[119:120]
	;; [unrolled: 4-line block ×5, first 2 shown]
	v_fma_f64 v[139:140], v[32:33], s[26:27], v[56:57]
	v_fma_f64 v[56:57], v[32:33], s[26:27], -v[56:57]
	v_add_f64 v[0:1], v[4:5], v[0:1]
	v_fma_f64 v[52:53], v[32:33], s[0:1], -v[52:53]
	v_fma_f64 v[64:65], v[32:33], s[24:25], -v[64:65]
	;; [unrolled: 1-line block ×5, first 2 shown]
	v_fma_f64 v[127:128], v[30:31], s[36:37], v[50:51]
	v_fma_f64 v[50:51], v[30:31], s[22:23], v[50:51]
	;; [unrolled: 1-line block ×7, first 2 shown]
	v_add_f64 v[28:29], v[46:47], v[48:49]
	v_add_f64 v[32:33], v[62:63], v[79:80]
	;; [unrolled: 1-line block ×26, first 2 shown]
	v_lshl_add_u32 v195, v72, 4, v193
	v_lshl_add_u32 v194, v75, 4, v193
	v_cmp_gt_u32_e64 s0, 17, v68
                                        ; implicit-def: $vgpr58_vgpr59
	v_add_f64 v[0:1], v[56:57], v[28:29]
	v_add_f64 v[28:29], v[52:53], v[32:33]
	;; [unrolled: 1-line block ×15, first 2 shown]
	v_mad_u32_u24 v52, 0xd0, v68, v193
	ds_store_b128 v52, v[4:7] offset:32
	ds_store_b128 v52, v[12:15] offset:48
	;; [unrolled: 1-line block ×11, first 2 shown]
	ds_store_b128 v52, v[8:11]
	ds_store_b128 v52, v[48:51] offset:16
	s_waitcnt lgkmcnt(0)
	s_barrier
	buffer_gl0_inv
	ds_load_b128 v[8:11], v192
	ds_load_b128 v[44:47], v69 offset:3536
	ds_load_b128 v[32:35], v69 offset:7072
	;; [unrolled: 1-line block ×3, first 2 shown]
	ds_load_b128 v[12:15], v195
	ds_load_b128 v[4:7], v194
	ds_load_b128 v[36:39], v69 offset:4624
	ds_load_b128 v[20:23], v69 offset:5712
	;; [unrolled: 1-line block ×6, first 2 shown]
                                        ; implicit-def: $vgpr54_vgpr55
                                        ; implicit-def: $vgpr62_vgpr63
	s_and_saveexec_b32 s1, s0
	s_cbranch_execz .LBB0_14
; %bb.13:
	v_lshlrev_b32_e32 v0, 4, v74
	s_delay_alu instid0(VALU_DEP_1)
	v_add3_u32 v0, 0, v0, v76
	ds_load_b128 v[52:55], v69 offset:6800
	ds_load_b128 v[56:59], v69 offset:10336
	ds_load_b128 v[0:3], v0
	ds_load_b128 v[60:63], v69 offset:13872
.LBB0_14:
	s_or_b32 exec_lo, exec_lo, s1
	v_and_b32_e32 v64, 0xff, v68
	v_and_b32_e32 v65, 0xff, v72
	;; [unrolled: 1-line block ×3, first 2 shown]
	s_delay_alu instid0(VALU_DEP_3) | instskip(NEXT) | instid1(VALU_DEP_1)
	v_mul_lo_u16 v64, 0x4f, v64
	v_lshrrev_b16 v146, 10, v64
	s_delay_alu instid0(VALU_DEP_4) | instskip(SKIP_1) | instid1(VALU_DEP_3)
	v_mul_lo_u16 v64, 0x4f, v65
	v_and_b32_e32 v65, 0xff, v75
	v_mul_lo_u16 v67, v146, 13
	s_delay_alu instid0(VALU_DEP_3) | instskip(NEXT) | instid1(VALU_DEP_3)
	v_lshrrev_b16 v147, 10, v64
	v_mul_lo_u16 v64, 0x4f, v65
	v_mul_u32_u24_e32 v65, 0x4ec5, v66
	s_delay_alu instid0(VALU_DEP_4) | instskip(NEXT) | instid1(VALU_DEP_4)
	v_sub_nc_u16 v66, v68, v67
	v_mul_lo_u16 v67, v147, 13
	s_delay_alu instid0(VALU_DEP_4) | instskip(NEXT) | instid1(VALU_DEP_4)
	v_lshrrev_b16 v148, 10, v64
	v_lshrrev_b32_e32 v64, 18, v65
	s_delay_alu instid0(VALU_DEP_4) | instskip(NEXT) | instid1(VALU_DEP_4)
	v_and_b32_e32 v149, 0xff, v66
	v_sub_nc_u16 v65, v72, v67
	s_delay_alu instid0(VALU_DEP_4) | instskip(NEXT) | instid1(VALU_DEP_4)
	v_mul_lo_u16 v66, v148, 13
	v_mul_lo_u16 v64, v64, 13
	s_delay_alu instid0(VALU_DEP_4) | instskip(NEXT) | instid1(VALU_DEP_4)
	v_mul_u32_u24_e32 v67, 3, v149
	v_and_b32_e32 v150, 0xff, v65
	s_delay_alu instid0(VALU_DEP_4) | instskip(NEXT) | instid1(VALU_DEP_4)
	v_sub_nc_u16 v65, v75, v66
	v_sub_nc_u16 v64, v74, v64
	s_delay_alu instid0(VALU_DEP_4) | instskip(NEXT) | instid1(VALU_DEP_4)
	v_lshlrev_b32_e32 v82, 4, v67
	v_mul_u32_u24_e32 v83, 3, v150
	s_delay_alu instid0(VALU_DEP_4) | instskip(NEXT) | instid1(VALU_DEP_4)
	v_and_b32_e32 v151, 0xff, v65
	v_and_b32_e32 v77, 0xffff, v64
	s_clause 0x1
	global_load_b128 v[64:67], v82, s[4:5] offset:16
	global_load_b128 v[78:81], v82, s[4:5]
	v_lshlrev_b32_e32 v94, 4, v83
	v_mul_u32_u24_e32 v90, 3, v151
	v_mul_u32_u24_e32 v102, 3, v77
	s_clause 0x1
	global_load_b128 v[82:85], v82, s[4:5] offset:32
	global_load_b128 v[86:89], v94, s[4:5]
	v_lshlrev_b32_e32 v106, 4, v90
	v_lshlrev_b32_e32 v118, 4, v102
	s_clause 0x7
	global_load_b128 v[90:93], v94, s[4:5] offset:16
	global_load_b128 v[94:97], v94, s[4:5] offset:32
	global_load_b128 v[98:101], v106, s[4:5]
	global_load_b128 v[102:105], v106, s[4:5] offset:16
	global_load_b128 v[106:109], v106, s[4:5] offset:32
	global_load_b128 v[110:113], v118, s[4:5]
	global_load_b128 v[114:117], v118, s[4:5] offset:16
	global_load_b128 v[118:121], v118, s[4:5] offset:32
	s_waitcnt vmcnt(0) lgkmcnt(0)
	s_barrier
	buffer_gl0_inv
	v_mul_f64 v[124:125], v[34:35], v[66:67]
	v_mul_f64 v[122:123], v[46:47], v[80:81]
	;; [unrolled: 1-line block ×24, first 2 shown]
	v_fma_f64 v[32:33], v[32:33], v[64:65], v[124:125]
	v_fma_f64 v[44:45], v[44:45], v[78:79], v[122:123]
	v_fma_f64 v[46:47], v[46:47], v[78:79], -v[80:81]
	v_fma_f64 v[34:35], v[34:35], v[64:65], -v[66:67]
	v_fma_f64 v[48:49], v[48:49], v[82:83], v[126:127]
	v_fma_f64 v[50:51], v[50:51], v[82:83], -v[84:85]
	v_fma_f64 v[36:37], v[36:37], v[86:87], v[128:129]
	;; [unrolled: 2-line block ×10, first 2 shown]
	v_fma_f64 v[62:63], v[62:63], v[118:119], -v[120:121]
	v_add_f64 v[64:65], v[8:9], -v[32:33]
	v_add_f64 v[66:67], v[10:11], -v[34:35]
	v_add_f64 v[32:33], v[44:45], -v[48:49]
	v_add_f64 v[34:35], v[46:47], -v[50:51]
	v_add_f64 v[48:49], v[12:13], -v[16:17]
	v_add_f64 v[50:51], v[14:15], -v[18:19]
	v_add_f64 v[16:17], v[36:37], -v[40:41]
	v_add_f64 v[18:19], v[38:39], -v[42:43]
	v_add_f64 v[78:79], v[4:5], -v[24:25]
	v_add_f64 v[80:81], v[6:7], -v[26:27]
	v_add_f64 v[24:25], v[20:21], -v[28:29]
	v_add_f64 v[26:27], v[22:23], -v[30:31]
	v_add_f64 v[82:83], v[0:1], -v[56:57]
	v_add_f64 v[84:85], v[2:3], -v[58:59]
	v_add_f64 v[60:61], v[52:53], -v[60:61]
	v_add_f64 v[62:63], v[54:55], -v[62:63]
	v_fma_f64 v[86:87], v[8:9], 2.0, -v[64:65]
	v_fma_f64 v[88:89], v[10:11], 2.0, -v[66:67]
	;; [unrolled: 1-line block ×8, first 2 shown]
	v_add_f64 v[12:13], v[64:65], v[34:35]
	v_add_f64 v[14:15], v[66:67], -v[32:33]
	v_fma_f64 v[36:37], v[4:5], 2.0, -v[78:79]
	v_fma_f64 v[38:39], v[6:7], 2.0, -v[80:81]
	;; [unrolled: 1-line block ×4, first 2 shown]
	v_add_f64 v[40:41], v[78:79], v[26:27]
	v_add_f64 v[42:43], v[80:81], -v[24:25]
	v_fma_f64 v[90:91], v[0:1], 2.0, -v[82:83]
	v_fma_f64 v[92:93], v[2:3], 2.0, -v[84:85]
	v_fma_f64 v[0:1], v[52:53], 2.0, -v[60:61]
	v_fma_f64 v[2:3], v[54:55], 2.0, -v[62:63]
	v_add_f64 v[52:53], v[48:49], v[18:19]
	v_add_f64 v[54:55], v[50:51], -v[16:17]
	v_add_f64 v[16:17], v[82:83], v[62:63]
	v_add_f64 v[18:19], v[84:85], -v[60:61]
	v_add_f64 v[8:9], v[86:87], -v[8:9]
	;; [unrolled: 1-line block ×7, first 2 shown]
	v_fma_f64 v[4:5], v[64:65], 2.0, -v[12:13]
	v_fma_f64 v[6:7], v[66:67], 2.0, -v[14:15]
	;; [unrolled: 1-line block ×4, first 2 shown]
	v_add_f64 v[32:33], v[90:91], -v[0:1]
	v_add_f64 v[34:35], v[92:93], -v[2:3]
	v_fma_f64 v[24:25], v[48:49], 2.0, -v[52:53]
	v_fma_f64 v[26:27], v[50:51], 2.0, -v[54:55]
	v_lshlrev_b32_e32 v78, 4, v150
	v_lshlrev_b32_e32 v79, 4, v151
	v_fma_f64 v[0:1], v[86:87], 2.0, -v[8:9]
	v_fma_f64 v[2:3], v[88:89], 2.0, -v[10:11]
	;; [unrolled: 1-line block ×4, first 2 shown]
	v_and_b32_e32 v44, 0xffff, v146
	v_and_b32_e32 v45, 0xffff, v147
	;; [unrolled: 1-line block ×3, first 2 shown]
	v_lshlrev_b32_e32 v47, 4, v149
	v_fma_f64 v[64:65], v[36:37], 2.0, -v[56:57]
	v_fma_f64 v[66:67], v[38:39], 2.0, -v[58:59]
	;; [unrolled: 1-line block ×4, first 2 shown]
	v_mad_u32_u24 v44, 0x340, v44, 0
	v_mad_u32_u24 v45, 0x340, v45, 0
	v_fma_f64 v[48:49], v[90:91], 2.0, -v[32:33]
	v_fma_f64 v[50:51], v[92:93], 2.0, -v[34:35]
	v_mad_u32_u24 v46, 0x340, v46, 0
	v_add3_u32 v44, v44, v47, v76
	v_add3_u32 v45, v45, v78, v76
	s_delay_alu instid0(VALU_DEP_3)
	v_add3_u32 v46, v46, v79, v76
	ds_store_b128 v44, v[8:11] offset:416
	ds_store_b128 v44, v[12:15] offset:624
	ds_store_b128 v44, v[0:3]
	ds_store_b128 v44, v[4:7] offset:208
	ds_store_b128 v45, v[20:23]
	ds_store_b128 v45, v[24:27] offset:208
	ds_store_b128 v45, v[28:31] offset:416
	;; [unrolled: 1-line block ×3, first 2 shown]
	ds_store_b128 v46, v[64:67]
	ds_store_b128 v46, v[60:63] offset:208
	ds_store_b128 v46, v[56:59] offset:416
	;; [unrolled: 1-line block ×3, first 2 shown]
	s_and_saveexec_b32 s1, s0
	s_cbranch_execz .LBB0_16
; %bb.15:
	v_and_b32_e32 v44, 0xff, v74
	v_lshlrev_b32_e32 v45, 4, v77
	s_delay_alu instid0(VALU_DEP_2) | instskip(NEXT) | instid1(VALU_DEP_1)
	v_mul_lo_u16 v44, 0x4f, v44
	v_lshrrev_b16 v44, 10, v44
	s_delay_alu instid0(VALU_DEP_1) | instskip(NEXT) | instid1(VALU_DEP_1)
	v_and_b32_e32 v44, 0xffff, v44
	v_mad_u32_u24 v44, 0x340, v44, 0
	s_delay_alu instid0(VALU_DEP_1)
	v_add3_u32 v44, v44, v45, v76
	ds_store_b128 v44, v[48:51]
	ds_store_b128 v44, v[36:39] offset:208
	ds_store_b128 v44, v[32:35] offset:416
	;; [unrolled: 1-line block ×3, first 2 shown]
.LBB0_16:
	s_or_b32 exec_lo, exec_lo, s1
	v_cmp_gt_u32_e64 s0, 52, v68
	s_waitcnt lgkmcnt(0)
	s_barrier
	buffer_gl0_inv
                                        ; implicit-def: $vgpr46_vgpr47
	s_and_saveexec_b32 s1, s0
	s_cbranch_execz .LBB0_18
; %bb.17:
	ds_load_b128 v[0:3], v192
	ds_load_b128 v[4:7], v69 offset:832
	ds_load_b128 v[8:11], v69 offset:1664
	;; [unrolled: 1-line block ×16, first 2 shown]
.LBB0_18:
	s_or_b32 exec_lo, exec_lo, s1
	s_waitcnt lgkmcnt(0)
	s_barrier
	buffer_gl0_inv
	s_and_saveexec_b32 s33, s0
	s_cbranch_execz .LBB0_20
; %bb.19:
	v_dual_mov_b32 v77, 0 :: v_dual_add_nc_u32 v76, 0xfffffcc0, v73
	s_mov_b32 s34, 0x2a9d6da3
	s_mov_b32 s18, 0x4363dd80
	;; [unrolled: 1-line block ×3, first 2 shown]
	s_delay_alu instid0(VALU_DEP_1)
	v_cndmask_b32_e64 v76, v76, v73, s0
	s_mov_b32 s35, 0x3fe58eea
	s_mov_b32 s19, 0xbfe0d888
	;; [unrolled: 1-line block ×4, first 2 shown]
	v_lshlrev_b64 v[76:77], 4, v[76:77]
	s_mov_b32 s42, s34
	s_mov_b32 s38, 0xeb564b22
	;; [unrolled: 1-line block ×5, first 2 shown]
	v_add_co_u32 v102, s0, s4, v76
	s_delay_alu instid0(VALU_DEP_1)
	v_add_co_ci_u32_e64 v103, s0, s5, v77, s0
	s_mov_b32 s16, 0x75d4884
	s_mov_b32 s6, 0x910ea3b9
	;; [unrolled: 1-line block ×3, first 2 shown]
	s_clause 0x1
	global_load_b128 v[78:81], v[102:103], off offset:736
	global_load_b128 v[90:93], v[102:103], off offset:720
	s_mov_b32 s12, 0x7faef3
	s_mov_b32 s39, 0x3fefdd0d
	;; [unrolled: 1-line block ×31, first 2 shown]
	s_waitcnt vmcnt(1)
	v_mul_f64 v[76:77], v[66:67], v[80:81]
	s_delay_alu instid0(VALU_DEP_1) | instskip(SKIP_1) | instid1(VALU_DEP_1)
	v_fma_f64 v[76:77], v[64:65], v[78:79], v[76:77]
	v_mul_f64 v[64:65], v[64:65], v[80:81]
	v_fma_f64 v[66:67], v[66:67], v[78:79], -v[64:65]
	s_clause 0x1
	global_load_b128 v[78:81], v[102:103], off offset:752
	global_load_b128 v[94:97], v[102:103], off offset:768
	s_waitcnt vmcnt(1)
	v_mul_f64 v[64:65], v[62:63], v[80:81]
	s_delay_alu instid0(VALU_DEP_1) | instskip(SKIP_1) | instid1(VALU_DEP_2)
	v_fma_f64 v[82:83], v[60:61], v[78:79], v[64:65]
	v_mul_f64 v[60:61], v[60:61], v[80:81]
	v_add_f64 v[218:219], v[76:77], -v[82:83]
	s_delay_alu instid0(VALU_DEP_2) | instskip(SKIP_2) | instid1(VALU_DEP_4)
	v_fma_f64 v[84:85], v[62:63], v[78:79], -v[60:61]
	v_mul_f64 v[60:61], v[54:55], v[92:93]
	v_add_f64 v[158:159], v[76:77], v[82:83]
	v_mul_f64 v[220:221], v[218:219], s[38:39]
	s_delay_alu instid0(VALU_DEP_4) | instskip(NEXT) | instid1(VALU_DEP_4)
	v_add_f64 v[156:157], v[66:67], v[84:85]
	v_fma_f64 v[88:89], v[52:53], v[90:91], v[60:61]
	v_mul_f64 v[52:53], v[52:53], v[92:93]
	v_add_f64 v[222:223], v[66:67], -v[84:85]
	s_delay_alu instid0(VALU_DEP_2) | instskip(SKIP_2) | instid1(VALU_DEP_3)
	v_fma_f64 v[92:93], v[54:55], v[90:91], -v[52:53]
	s_waitcnt vmcnt(0)
	v_mul_f64 v[52:53], v[58:59], v[96:97]
	v_mul_f64 v[224:225], v[222:223], s[38:39]
	s_delay_alu instid0(VALU_DEP_2) | instskip(SKIP_1) | instid1(VALU_DEP_2)
	v_fma_f64 v[60:61], v[56:57], v[94:95], v[52:53]
	v_mul_f64 v[52:53], v[56:57], v[96:97]
	v_add_f64 v[214:215], v[88:89], -v[60:61]
	s_delay_alu instid0(VALU_DEP_2)
	v_fma_f64 v[86:87], v[58:59], v[94:95], -v[52:53]
	s_clause 0x1
	global_load_b128 v[52:55], v[102:103], off offset:704
	global_load_b128 v[56:59], v[102:103], off offset:688
	v_add_f64 v[154:155], v[88:89], v[60:61]
	v_add_f64 v[152:153], v[92:93], v[86:87]
	v_add_f64 v[216:217], v[92:93], -v[86:87]
	s_waitcnt vmcnt(1)
	v_mul_f64 v[62:63], v[30:31], v[54:55]
	s_delay_alu instid0(VALU_DEP_1) | instskip(SKIP_1) | instid1(VALU_DEP_1)
	v_fma_f64 v[104:105], v[28:29], v[52:53], v[62:63]
	v_mul_f64 v[28:29], v[28:29], v[54:55]
	v_fma_f64 v[106:107], v[30:31], v[52:53], -v[28:29]
	s_clause 0x1
	global_load_b128 v[28:31], v[102:103], off offset:784
	global_load_b128 v[52:55], v[102:103], off offset:800
	s_waitcnt vmcnt(1)
	v_mul_f64 v[62:63], v[42:43], v[30:31]
	v_mul_f64 v[30:31], v[40:41], v[30:31]
	s_delay_alu instid0(VALU_DEP_2) | instskip(NEXT) | instid1(VALU_DEP_2)
	v_fma_f64 v[96:97], v[40:41], v[28:29], v[62:63]
	v_fma_f64 v[98:99], v[42:43], v[28:29], -v[30:31]
	v_mul_f64 v[28:29], v[26:27], v[58:59]
	s_delay_alu instid0(VALU_DEP_3) | instskip(NEXT) | instid1(VALU_DEP_3)
	v_add_f64 v[210:211], v[104:105], -v[96:97]
	v_add_f64 v[148:149], v[106:107], v[98:99]
	s_delay_alu instid0(VALU_DEP_3) | instskip(SKIP_3) | instid1(VALU_DEP_3)
	v_fma_f64 v[112:113], v[24:25], v[56:57], v[28:29]
	v_mul_f64 v[24:25], v[24:25], v[58:59]
	v_add_f64 v[212:213], v[106:107], -v[98:99]
	v_add_f64 v[150:151], v[104:105], v[96:97]
	v_fma_f64 v[114:115], v[26:27], v[56:57], -v[24:25]
	s_waitcnt vmcnt(0)
	v_mul_f64 v[24:25], v[50:51], v[54:55]
	s_delay_alu instid0(VALU_DEP_1) | instskip(SKIP_1) | instid1(VALU_DEP_2)
	v_fma_f64 v[64:65], v[48:49], v[52:53], v[24:25]
	v_mul_f64 v[24:25], v[48:49], v[54:55]
	v_add_f64 v[176:177], v[112:113], -v[64:65]
	s_delay_alu instid0(VALU_DEP_2)
	v_fma_f64 v[100:101], v[50:51], v[52:53], -v[24:25]
	s_clause 0x1
	global_load_b128 v[24:27], v[102:103], off offset:672
	global_load_b128 v[28:31], v[102:103], off offset:656
	v_add_f64 v[146:147], v[112:113], v[64:65]
	v_add_f64 v[178:179], v[114:115], -v[100:101]
	s_waitcnt vmcnt(1)
	v_mul_f64 v[40:41], v[22:23], v[26:27]
	s_delay_alu instid0(VALU_DEP_1) | instskip(SKIP_1) | instid1(VALU_DEP_1)
	v_fma_f64 v[116:117], v[20:21], v[24:25], v[40:41]
	v_mul_f64 v[20:21], v[20:21], v[26:27]
	v_fma_f64 v[118:119], v[22:23], v[24:25], -v[20:21]
	s_clause 0x1
	global_load_b128 v[20:23], v[102:103], off offset:816
	global_load_b128 v[24:27], v[102:103], off offset:832
	s_waitcnt vmcnt(1)
	v_mul_f64 v[40:41], v[38:39], v[22:23]
	v_mul_f64 v[22:23], v[36:37], v[22:23]
	s_delay_alu instid0(VALU_DEP_2) | instskip(NEXT) | instid1(VALU_DEP_2)
	v_fma_f64 v[78:79], v[36:37], v[20:21], v[40:41]
	v_fma_f64 v[90:91], v[38:39], v[20:21], -v[22:23]
	v_mul_f64 v[20:21], v[14:15], v[30:31]
	s_delay_alu instid0(VALU_DEP_3) | instskip(NEXT) | instid1(VALU_DEP_3)
	v_add_f64 v[172:173], v[116:117], -v[78:79]
	v_add_f64 v[174:175], v[118:119], -v[90:91]
	s_delay_alu instid0(VALU_DEP_3) | instskip(SKIP_1) | instid1(VALU_DEP_1)
	v_fma_f64 v[120:121], v[12:13], v[28:29], v[20:21]
	v_mul_f64 v[12:13], v[12:13], v[30:31]
	v_fma_f64 v[122:123], v[14:15], v[28:29], -v[12:13]
	s_waitcnt vmcnt(0)
	v_mul_f64 v[12:13], v[34:35], v[26:27]
	s_delay_alu instid0(VALU_DEP_1) | instskip(SKIP_1) | instid1(VALU_DEP_2)
	v_fma_f64 v[62:63], v[32:33], v[24:25], v[12:13]
	v_mul_f64 v[12:13], v[32:33], v[26:27]
	v_add_f64 v[166:167], v[120:121], -v[62:63]
	s_delay_alu instid0(VALU_DEP_2)
	v_fma_f64 v[80:81], v[34:35], v[24:25], -v[12:13]
	s_clause 0x1
	global_load_b128 v[12:15], v[102:103], off offset:640
	global_load_b128 v[20:23], v[102:103], off offset:624
	v_add_f64 v[168:169], v[122:123], -v[80:81]
	s_waitcnt vmcnt(1)
	v_mul_f64 v[24:25], v[10:11], v[14:15]
	s_delay_alu instid0(VALU_DEP_1) | instskip(SKIP_1) | instid1(VALU_DEP_1)
	v_fma_f64 v[124:125], v[8:9], v[12:13], v[24:25]
	v_mul_f64 v[8:9], v[8:9], v[14:15]
	v_fma_f64 v[126:127], v[10:11], v[12:13], -v[8:9]
	s_clause 0x1
	global_load_b128 v[8:11], v[102:103], off offset:848
	global_load_b128 v[12:15], v[102:103], off offset:864
	s_waitcnt vmcnt(1)
	v_mul_f64 v[24:25], v[18:19], v[10:11]
	v_mul_f64 v[10:11], v[16:17], v[10:11]
	s_delay_alu instid0(VALU_DEP_2) | instskip(NEXT) | instid1(VALU_DEP_2)
	v_fma_f64 v[102:103], v[16:17], v[8:9], v[24:25]
	v_fma_f64 v[110:111], v[18:19], v[8:9], -v[10:11]
	v_mul_f64 v[8:9], v[6:7], v[22:23]
	s_delay_alu instid0(VALU_DEP_3) | instskip(NEXT) | instid1(VALU_DEP_3)
	v_add_f64 v[162:163], v[124:125], -v[102:103]
	v_add_f64 v[164:165], v[126:127], -v[110:111]
	s_delay_alu instid0(VALU_DEP_3) | instskip(SKIP_1) | instid1(VALU_DEP_2)
	v_fma_f64 v[8:9], v[4:5], v[20:21], v[8:9]
	v_mul_f64 v[4:5], v[4:5], v[22:23]
	v_add_f64 v[160:161], v[0:1], v[8:9]
	s_delay_alu instid0(VALU_DEP_2) | instskip(SKIP_2) | instid1(VALU_DEP_2)
	v_fma_f64 v[4:5], v[6:7], v[20:21], -v[4:5]
	s_waitcnt vmcnt(0)
	v_mul_f64 v[6:7], v[46:47], v[14:15]
	v_add_f64 v[190:191], v[2:3], v[4:5]
	s_delay_alu instid0(VALU_DEP_2) | instskip(SKIP_1) | instid1(VALU_DEP_2)
	v_fma_f64 v[94:95], v[44:45], v[12:13], v[6:7]
	v_mul_f64 v[6:7], v[44:45], v[14:15]
	v_add_f64 v[144:145], v[8:9], v[94:95]
	s_delay_alu instid0(VALU_DEP_2) | instskip(SKIP_1) | instid1(VALU_DEP_2)
	v_fma_f64 v[108:109], v[46:47], v[12:13], -v[6:7]
	v_add_f64 v[6:7], v[8:9], -v[94:95]
	v_add_f64 v[44:45], v[4:5], v[108:109]
	s_delay_alu instid0(VALU_DEP_2)
	v_mul_f64 v[10:11], v[6:7], s[20:21]
	v_mul_f64 v[12:13], v[6:7], s[18:19]
	;; [unrolled: 1-line block ×8, first 2 shown]
	v_fma_f64 v[36:37], v[44:45], s[12:13], v[10:11]
	v_fma_f64 v[34:35], v[44:45], s[12:13], -v[10:11]
	v_fma_f64 v[32:33], v[44:45], s[6:7], v[12:13]
	v_fma_f64 v[30:31], v[44:45], s[6:7], -v[12:13]
	;; [unrolled: 2-line block ×3, first 2 shown]
	v_add_f64 v[40:41], v[4:5], -v[108:109]
	v_fma_f64 v[28:29], v[44:45], s[2:3], v[14:15]
	v_fma_f64 v[26:27], v[44:45], s[2:3], -v[14:15]
	v_fma_f64 v[24:25], v[44:45], s[0:1], v[16:17]
	v_fma_f64 v[22:23], v[44:45], s[0:1], -v[16:17]
	;; [unrolled: 2-line block ×5, first 2 shown]
	v_add_f64 v[4:5], v[2:3], v[36:37]
	v_add_f64 v[34:35], v[2:3], v[34:35]
	;; [unrolled: 1-line block ×6, first 2 shown]
	v_mul_f64 v[44:45], v[40:41], s[18:19]
	v_mul_f64 v[46:47], v[40:41], s[22:23]
	;; [unrolled: 1-line block ×8, first 2 shown]
	v_add_f64 v[28:29], v[2:3], v[28:29]
	v_add_f64 v[26:27], v[2:3], v[26:27]
	;; [unrolled: 1-line block ×8, first 2 shown]
	v_fma_f64 v[132:133], v[144:145], s[6:7], -v[44:45]
	v_fma_f64 v[128:129], v[144:145], s[2:3], -v[46:47]
	;; [unrolled: 1-line block ×3, first 2 shown]
	v_fma_f64 v[134:135], v[144:145], s[12:13], v[42:43]
	v_fma_f64 v[130:131], v[144:145], s[6:7], v[44:45]
	;; [unrolled: 1-line block ×3, first 2 shown]
	v_fma_f64 v[56:57], v[144:145], s[0:1], -v[48:49]
	v_fma_f64 v[54:55], v[144:145], s[0:1], v[48:49]
	v_fma_f64 v[52:53], v[144:145], s[10:11], -v[50:51]
	v_fma_f64 v[50:51], v[144:145], s[10:11], v[50:51]
	;; [unrolled: 2-line block ×5, first 2 shown]
	v_add_f64 v[140:141], v[118:119], v[90:91]
	v_add_f64 v[142:143], v[116:117], v[78:79]
	;; [unrolled: 1-line block ×7, first 2 shown]
	v_mul_f64 v[6:7], v[162:163], s[30:31]
	v_add_f64 v[8:9], v[0:1], v[136:137]
	v_add_f64 v[36:37], v[0:1], v[134:135]
	;; [unrolled: 1-line block ×20, first 2 shown]
	v_fma_f64 v[0:1], v[132:133], s[26:27], v[6:7]
	v_fma_f64 v[6:7], v[132:133], s[26:27], -v[6:7]
	s_delay_alu instid0(VALU_DEP_4) | instskip(NEXT) | instid1(VALU_DEP_4)
	v_add_f64 v[122:123], v[126:127], v[122:123]
	v_add_f64 v[120:121], v[124:125], v[120:121]
	s_delay_alu instid0(VALU_DEP_4) | instskip(SKIP_4) | instid1(VALU_DEP_4)
	v_add_f64 v[0:1], v[0:1], v[4:5]
	v_mul_f64 v[4:5], v[164:165], s[30:31]
	v_add_f64 v[6:7], v[6:7], v[34:35]
	v_add_f64 v[118:119], v[122:123], v[118:119]
	;; [unrolled: 1-line block ×3, first 2 shown]
	v_fma_f64 v[2:3], v[134:135], s[26:27], -v[4:5]
	v_fma_f64 v[4:5], v[134:135], s[26:27], v[4:5]
	s_delay_alu instid0(VALU_DEP_4) | instskip(NEXT) | instid1(VALU_DEP_4)
	v_add_f64 v[114:115], v[118:119], v[114:115]
	v_add_f64 v[112:113], v[116:117], v[112:113]
	s_delay_alu instid0(VALU_DEP_4) | instskip(SKIP_4) | instid1(VALU_DEP_4)
	v_add_f64 v[2:3], v[2:3], v[8:9]
	v_mul_f64 v[8:9], v[166:167], s[18:19]
	v_add_f64 v[4:5], v[4:5], v[36:37]
	v_add_f64 v[106:107], v[114:115], v[106:107]
	;; [unrolled: 1-line block ×3, first 2 shown]
	v_fma_f64 v[10:11], v[136:137], s[6:7], v[8:9]
	v_fma_f64 v[8:9], v[136:137], s[6:7], -v[8:9]
	s_delay_alu instid0(VALU_DEP_4) | instskip(NEXT) | instid1(VALU_DEP_4)
	v_add_f64 v[92:93], v[106:107], v[92:93]
	v_add_f64 v[88:89], v[104:105], v[88:89]
	s_delay_alu instid0(VALU_DEP_4) | instskip(SKIP_4) | instid1(VALU_DEP_4)
	v_add_f64 v[0:1], v[10:11], v[0:1]
	v_mul_f64 v[10:11], v[168:169], s[18:19]
	v_add_f64 v[6:7], v[8:9], v[6:7]
	v_add_f64 v[66:67], v[92:93], v[66:67]
	;; [unrolled: 1-line block ×3, first 2 shown]
	v_fma_f64 v[12:13], v[138:139], s[6:7], -v[10:11]
	v_fma_f64 v[8:9], v[138:139], s[6:7], v[10:11]
	v_fma_f64 v[10:11], v[158:159], s[10:11], v[224:225]
	v_add_f64 v[66:67], v[66:67], v[84:85]
	v_add_f64 v[76:77], v[76:77], v[82:83]
	;; [unrolled: 1-line block ×3, first 2 shown]
	v_mul_f64 v[12:13], v[172:173], s[34:35]
	v_add_f64 v[4:5], v[8:9], v[4:5]
	v_add_f64 v[66:67], v[66:67], v[86:87]
	;; [unrolled: 1-line block ×3, first 2 shown]
	s_delay_alu instid0(VALU_DEP_4)
	v_fma_f64 v[14:15], v[140:141], s[16:17], v[12:13]
	v_fma_f64 v[8:9], v[140:141], s[16:17], -v[12:13]
	v_mul_f64 v[12:13], v[162:163], s[28:29]
	v_add_f64 v[66:67], v[66:67], v[98:99]
	v_add_f64 v[60:61], v[60:61], v[96:97]
	;; [unrolled: 1-line block ×3, first 2 shown]
	v_mul_f64 v[14:15], v[174:175], s[34:35]
	v_add_f64 v[6:7], v[8:9], v[6:7]
	v_add_f64 v[66:67], v[66:67], v[100:101]
	;; [unrolled: 1-line block ×3, first 2 shown]
	s_delay_alu instid0(VALU_DEP_4)
	v_fma_f64 v[16:17], v[142:143], s[16:17], -v[14:15]
	v_fma_f64 v[8:9], v[142:143], s[16:17], v[14:15]
	v_mul_f64 v[14:15], v[164:165], s[28:29]
	v_add_f64 v[64:65], v[66:67], v[90:91]
	v_add_f64 v[60:61], v[60:61], v[78:79]
	;; [unrolled: 1-line block ×3, first 2 shown]
	v_mul_f64 v[16:17], v[176:177], s[22:23]
	v_add_f64 v[4:5], v[8:9], v[4:5]
	v_add_f64 v[64:65], v[64:65], v[80:81]
	;; [unrolled: 1-line block ×3, first 2 shown]
	s_delay_alu instid0(VALU_DEP_4)
	v_fma_f64 v[18:19], v[144:145], s[2:3], v[16:17]
	v_fma_f64 v[8:9], v[144:145], s[2:3], -v[16:17]
	v_mul_f64 v[16:17], v[166:167], s[36:37]
	v_add_f64 v[62:63], v[64:65], v[110:111]
	v_add_f64 v[60:61], v[60:61], v[102:103]
	v_add_f64 v[0:1], v[18:19], v[0:1]
	v_mul_f64 v[18:19], v[178:179], s[22:23]
	v_add_f64 v[6:7], v[8:9], v[6:7]
	v_add_f64 v[62:63], v[62:63], v[108:109]
	;; [unrolled: 1-line block ×3, first 2 shown]
	s_delay_alu instid0(VALU_DEP_4) | instskip(SKIP_3) | instid1(VALU_DEP_4)
	v_fma_f64 v[20:21], v[146:147], s[2:3], -v[18:19]
	v_fma_f64 v[8:9], v[146:147], s[2:3], v[18:19]
	v_fma_f64 v[18:19], v[136:137], s[10:11], v[16:17]
	v_fma_f64 v[16:17], v[136:137], s[10:11], -v[16:17]
	v_add_f64 v[2:3], v[20:21], v[2:3]
	v_mul_f64 v[20:21], v[210:211], s[28:29]
	v_add_f64 v[4:5], v[8:9], v[4:5]
	s_delay_alu instid0(VALU_DEP_2) | instskip(SKIP_1) | instid1(VALU_DEP_2)
	v_fma_f64 v[22:23], v[148:149], s[14:15], v[20:21]
	v_fma_f64 v[8:9], v[148:149], s[14:15], -v[20:21]
	v_add_f64 v[0:1], v[22:23], v[0:1]
	v_mul_f64 v[22:23], v[212:213], s[28:29]
	s_delay_alu instid0(VALU_DEP_3) | instskip(NEXT) | instid1(VALU_DEP_2)
	v_add_f64 v[6:7], v[8:9], v[6:7]
	v_fma_f64 v[38:39], v[150:151], s[14:15], -v[22:23]
	v_fma_f64 v[8:9], v[150:151], s[14:15], v[22:23]
	s_delay_alu instid0(VALU_DEP_2) | instskip(SKIP_1) | instid1(VALU_DEP_3)
	v_add_f64 v[2:3], v[38:39], v[2:3]
	v_mul_f64 v[38:39], v[214:215], s[24:25]
	v_add_f64 v[4:5], v[8:9], v[4:5]
	s_delay_alu instid0(VALU_DEP_2) | instskip(SKIP_1) | instid1(VALU_DEP_2)
	v_fma_f64 v[40:41], v[152:153], s[0:1], v[38:39]
	v_fma_f64 v[8:9], v[152:153], s[0:1], -v[38:39]
	v_add_f64 v[0:1], v[40:41], v[0:1]
	v_mul_f64 v[40:41], v[216:217], s[24:25]
	s_delay_alu instid0(VALU_DEP_3) | instskip(NEXT) | instid1(VALU_DEP_2)
	v_add_f64 v[6:7], v[8:9], v[6:7]
	v_fma_f64 v[8:9], v[154:155], s[0:1], v[40:41]
	v_fma_f64 v[42:43], v[154:155], s[0:1], -v[40:41]
	s_delay_alu instid0(VALU_DEP_2) | instskip(SKIP_1) | instid1(VALU_DEP_3)
	v_add_f64 v[4:5], v[8:9], v[4:5]
	v_fma_f64 v[8:9], v[156:157], s[10:11], -v[220:221]
	v_add_f64 v[42:43], v[42:43], v[2:3]
	v_fma_f64 v[2:3], v[156:157], s[10:11], v[220:221]
	v_mul_f64 v[220:221], v[218:219], s[24:25]
	v_add_f64 v[4:5], v[10:11], v[4:5]
	v_add_f64 v[6:7], v[8:9], v[6:7]
	v_fma_f64 v[8:9], v[132:133], s[14:15], v[12:13]
	v_fma_f64 v[10:11], v[134:135], s[14:15], -v[14:15]
	v_fma_f64 v[12:13], v[132:133], s[14:15], -v[12:13]
	v_fma_f64 v[14:15], v[134:135], s[14:15], v[14:15]
	v_add_f64 v[2:3], v[2:3], v[0:1]
	v_fma_f64 v[0:1], v[158:159], s[10:11], -v[224:225]
	v_mul_f64 v[224:225], v[222:223], s[24:25]
	v_add_f64 v[8:9], v[8:9], v[32:33]
	v_add_f64 v[10:11], v[10:11], v[170:171]
	;; [unrolled: 1-line block ×6, first 2 shown]
	v_mul_f64 v[18:19], v[168:169], s[36:37]
	v_add_f64 v[12:13], v[16:17], v[12:13]
	s_delay_alu instid0(VALU_DEP_2) | instskip(SKIP_2) | instid1(VALU_DEP_3)
	v_fma_f64 v[20:21], v[138:139], s[10:11], -v[18:19]
	v_fma_f64 v[16:17], v[138:139], s[10:11], v[18:19]
	v_fma_f64 v[18:19], v[158:159], s[0:1], v[224:225]
	v_add_f64 v[10:11], v[20:21], v[10:11]
	v_mul_f64 v[20:21], v[172:173], s[48:49]
	s_delay_alu instid0(VALU_DEP_4) | instskip(NEXT) | instid1(VALU_DEP_2)
	v_add_f64 v[14:15], v[16:17], v[14:15]
	v_fma_f64 v[22:23], v[140:141], s[2:3], v[20:21]
	v_fma_f64 v[16:17], v[140:141], s[2:3], -v[20:21]
	v_mul_f64 v[20:21], v[162:163], s[46:47]
	s_delay_alu instid0(VALU_DEP_3) | instskip(SKIP_1) | instid1(VALU_DEP_4)
	v_add_f64 v[8:9], v[22:23], v[8:9]
	v_mul_f64 v[22:23], v[174:175], s[48:49]
	v_add_f64 v[12:13], v[16:17], v[12:13]
	s_delay_alu instid0(VALU_DEP_2) | instskip(SKIP_2) | instid1(VALU_DEP_3)
	v_fma_f64 v[32:33], v[142:143], s[2:3], -v[22:23]
	v_fma_f64 v[16:17], v[142:143], s[2:3], v[22:23]
	v_mul_f64 v[22:23], v[164:165], s[46:47]
	v_add_f64 v[10:11], v[32:33], v[10:11]
	v_mul_f64 v[32:33], v[176:177], s[40:41]
	s_delay_alu instid0(VALU_DEP_4) | instskip(NEXT) | instid1(VALU_DEP_2)
	v_add_f64 v[14:15], v[16:17], v[14:15]
	v_fma_f64 v[34:35], v[144:145], s[26:27], v[32:33]
	v_fma_f64 v[16:17], v[144:145], s[26:27], -v[32:33]
	s_delay_alu instid0(VALU_DEP_2) | instskip(SKIP_1) | instid1(VALU_DEP_3)
	v_add_f64 v[8:9], v[34:35], v[8:9]
	v_mul_f64 v[34:35], v[178:179], s[40:41]
	v_add_f64 v[12:13], v[16:17], v[12:13]
	s_delay_alu instid0(VALU_DEP_2) | instskip(SKIP_1) | instid1(VALU_DEP_2)
	v_fma_f64 v[36:37], v[146:147], s[26:27], -v[34:35]
	v_fma_f64 v[16:17], v[146:147], s[26:27], v[34:35]
	v_add_f64 v[10:11], v[36:37], v[10:11]
	v_mul_f64 v[36:37], v[210:211], s[20:21]
	s_delay_alu instid0(VALU_DEP_3) | instskip(NEXT) | instid1(VALU_DEP_2)
	v_add_f64 v[14:15], v[16:17], v[14:15]
	v_fma_f64 v[38:39], v[148:149], s[12:13], v[36:37]
	v_fma_f64 v[16:17], v[148:149], s[12:13], -v[36:37]
	s_delay_alu instid0(VALU_DEP_2) | instskip(SKIP_1) | instid1(VALU_DEP_3)
	v_add_f64 v[8:9], v[38:39], v[8:9]
	v_mul_f64 v[38:39], v[212:213], s[20:21]
	v_add_f64 v[12:13], v[16:17], v[12:13]
	s_delay_alu instid0(VALU_DEP_2) | instskip(SKIP_1) | instid1(VALU_DEP_2)
	v_fma_f64 v[40:41], v[150:151], s[12:13], -v[38:39]
	v_fma_f64 v[16:17], v[150:151], s[12:13], v[38:39]
	v_add_f64 v[10:11], v[40:41], v[10:11]
	v_mul_f64 v[40:41], v[214:215], s[34:35]
	s_delay_alu instid0(VALU_DEP_3) | instskip(NEXT) | instid1(VALU_DEP_2)
	v_add_f64 v[14:15], v[16:17], v[14:15]
	v_fma_f64 v[42:43], v[152:153], s[16:17], v[40:41]
	v_fma_f64 v[16:17], v[152:153], s[16:17], -v[40:41]
	s_delay_alu instid0(VALU_DEP_2) | instskip(SKIP_1) | instid1(VALU_DEP_3)
	v_add_f64 v[8:9], v[42:43], v[8:9]
	v_mul_f64 v[42:43], v[216:217], s[34:35]
	v_add_f64 v[12:13], v[16:17], v[12:13]
	s_delay_alu instid0(VALU_DEP_2) | instskip(SKIP_1) | instid1(VALU_DEP_2)
	v_fma_f64 v[16:17], v[154:155], s[16:17], v[42:43]
	v_fma_f64 v[170:171], v[154:155], s[16:17], -v[42:43]
	v_add_f64 v[16:17], v[16:17], v[14:15]
	v_fma_f64 v[14:15], v[156:157], s[0:1], -v[220:221]
	s_delay_alu instid0(VALU_DEP_3) | instskip(SKIP_2) | instid1(VALU_DEP_4)
	v_add_f64 v[170:171], v[170:171], v[10:11]
	v_fma_f64 v[10:11], v[156:157], s[0:1], v[220:221]
	v_mul_f64 v[220:221], v[218:219], s[28:29]
	v_add_f64 v[14:15], v[14:15], v[12:13]
	v_add_f64 v[12:13], v[18:19], v[16:17]
	v_fma_f64 v[16:17], v[132:133], s[0:1], v[20:21]
	v_fma_f64 v[18:19], v[134:135], s[0:1], -v[22:23]
	v_fma_f64 v[20:21], v[132:133], s[0:1], -v[20:21]
	v_fma_f64 v[22:23], v[134:135], s[0:1], v[22:23]
	v_add_f64 v[10:11], v[10:11], v[8:9]
	v_fma_f64 v[8:9], v[158:159], s[0:1], -v[224:225]
	v_mul_f64 v[224:225], v[222:223], s[28:29]
	v_add_f64 v[16:17], v[16:17], v[28:29]
	v_mul_f64 v[28:29], v[166:167], s[40:41]
	v_add_f64 v[18:19], v[18:19], v[182:183]
	v_add_f64 v[20:21], v[20:21], v[26:27]
	;; [unrolled: 1-line block ×4, first 2 shown]
	v_fma_f64 v[30:31], v[136:137], s[26:27], v[28:29]
	v_fma_f64 v[26:27], v[136:137], s[26:27], -v[28:29]
	v_fma_f64 v[28:29], v[158:159], s[14:15], v[224:225]
	s_delay_alu instid0(VALU_DEP_3) | instskip(SKIP_1) | instid1(VALU_DEP_4)
	v_add_f64 v[16:17], v[30:31], v[16:17]
	v_mul_f64 v[30:31], v[168:169], s[40:41]
	v_add_f64 v[20:21], v[26:27], v[20:21]
	s_delay_alu instid0(VALU_DEP_2) | instskip(SKIP_2) | instid1(VALU_DEP_3)
	v_fma_f64 v[32:33], v[138:139], s[26:27], -v[30:31]
	v_fma_f64 v[26:27], v[138:139], s[26:27], v[30:31]
	v_mul_f64 v[30:31], v[164:165], s[50:51]
	v_add_f64 v[18:19], v[32:33], v[18:19]
	v_mul_f64 v[32:33], v[172:173], s[18:19]
	s_delay_alu instid0(VALU_DEP_4) | instskip(NEXT) | instid1(VALU_DEP_2)
	v_add_f64 v[22:23], v[26:27], v[22:23]
	v_fma_f64 v[34:35], v[140:141], s[6:7], v[32:33]
	v_fma_f64 v[26:27], v[140:141], s[6:7], -v[32:33]
	v_mul_f64 v[32:33], v[166:167], s[34:35]
	s_delay_alu instid0(VALU_DEP_3) | instskip(SKIP_1) | instid1(VALU_DEP_4)
	v_add_f64 v[16:17], v[34:35], v[16:17]
	v_mul_f64 v[34:35], v[174:175], s[18:19]
	v_add_f64 v[20:21], v[26:27], v[20:21]
	s_delay_alu instid0(VALU_DEP_2) | instskip(SKIP_3) | instid1(VALU_DEP_4)
	v_fma_f64 v[36:37], v[142:143], s[6:7], -v[34:35]
	v_fma_f64 v[26:27], v[142:143], s[6:7], v[34:35]
	v_fma_f64 v[34:35], v[136:137], s[16:17], v[32:33]
	v_fma_f64 v[32:33], v[136:137], s[16:17], -v[32:33]
	v_add_f64 v[18:19], v[36:37], v[18:19]
	v_mul_f64 v[36:37], v[176:177], s[38:39]
	v_add_f64 v[22:23], v[26:27], v[22:23]
	s_delay_alu instid0(VALU_DEP_2) | instskip(SKIP_1) | instid1(VALU_DEP_2)
	v_fma_f64 v[38:39], v[144:145], s[10:11], v[36:37]
	v_fma_f64 v[26:27], v[144:145], s[10:11], -v[36:37]
	v_add_f64 v[16:17], v[38:39], v[16:17]
	v_mul_f64 v[38:39], v[178:179], s[38:39]
	s_delay_alu instid0(VALU_DEP_3) | instskip(NEXT) | instid1(VALU_DEP_2)
	v_add_f64 v[20:21], v[26:27], v[20:21]
	v_fma_f64 v[40:41], v[146:147], s[10:11], -v[38:39]
	v_fma_f64 v[26:27], v[146:147], s[10:11], v[38:39]
	s_delay_alu instid0(VALU_DEP_2) | instskip(SKIP_1) | instid1(VALU_DEP_3)
	v_add_f64 v[18:19], v[40:41], v[18:19]
	v_mul_f64 v[40:41], v[210:211], s[42:43]
	v_add_f64 v[22:23], v[26:27], v[22:23]
	s_delay_alu instid0(VALU_DEP_2) | instskip(SKIP_1) | instid1(VALU_DEP_2)
	v_fma_f64 v[42:43], v[148:149], s[16:17], v[40:41]
	v_fma_f64 v[26:27], v[148:149], s[16:17], -v[40:41]
	v_add_f64 v[16:17], v[42:43], v[16:17]
	v_mul_f64 v[42:43], v[212:213], s[42:43]
	s_delay_alu instid0(VALU_DEP_3) | instskip(NEXT) | instid1(VALU_DEP_2)
	v_add_f64 v[20:21], v[26:27], v[20:21]
	v_fma_f64 v[170:171], v[150:151], s[16:17], -v[42:43]
	v_fma_f64 v[26:27], v[150:151], s[16:17], v[42:43]
	s_delay_alu instid0(VALU_DEP_2) | instskip(SKIP_1) | instid1(VALU_DEP_3)
	v_add_f64 v[18:19], v[170:171], v[18:19]
	v_mul_f64 v[170:171], v[214:215], s[20:21]
	v_add_f64 v[22:23], v[26:27], v[22:23]
	s_delay_alu instid0(VALU_DEP_2) | instskip(SKIP_1) | instid1(VALU_DEP_2)
	v_fma_f64 v[180:181], v[152:153], s[12:13], v[170:171]
	v_fma_f64 v[26:27], v[152:153], s[12:13], -v[170:171]
	v_add_f64 v[16:17], v[180:181], v[16:17]
	v_mul_f64 v[180:181], v[216:217], s[20:21]
	s_delay_alu instid0(VALU_DEP_3) | instskip(NEXT) | instid1(VALU_DEP_2)
	v_add_f64 v[20:21], v[26:27], v[20:21]
	v_fma_f64 v[26:27], v[154:155], s[12:13], v[180:181]
	v_fma_f64 v[182:183], v[154:155], s[12:13], -v[180:181]
	s_delay_alu instid0(VALU_DEP_2) | instskip(SKIP_1) | instid1(VALU_DEP_3)
	v_add_f64 v[26:27], v[26:27], v[22:23]
	v_fma_f64 v[22:23], v[156:157], s[14:15], -v[220:221]
	v_add_f64 v[182:183], v[182:183], v[18:19]
	v_fma_f64 v[18:19], v[156:157], s[14:15], v[220:221]
	v_mul_f64 v[220:221], v[218:219], s[22:23]
	s_delay_alu instid0(VALU_DEP_4)
	v_add_f64 v[22:23], v[22:23], v[20:21]
	v_add_f64 v[20:21], v[28:29], v[26:27]
	v_mul_f64 v[28:29], v[162:163], s[50:51]
	v_add_f64 v[18:19], v[18:19], v[16:17]
	v_fma_f64 v[16:17], v[158:159], s[14:15], -v[224:225]
	v_mul_f64 v[224:225], v[222:223], s[22:23]
	s_delay_alu instid0(VALU_DEP_4) | instskip(SKIP_1) | instid1(VALU_DEP_4)
	v_fma_f64 v[26:27], v[132:133], s[6:7], v[28:29]
	v_fma_f64 v[28:29], v[132:133], s[6:7], -v[28:29]
	v_add_f64 v[16:17], v[16:17], v[182:183]
	s_delay_alu instid0(VALU_DEP_3) | instskip(SKIP_1) | instid1(VALU_DEP_4)
	v_add_f64 v[24:25], v[26:27], v[24:25]
	v_fma_f64 v[26:27], v[134:135], s[6:7], -v[30:31]
	v_add_f64 v[28:29], v[28:29], v[184:185]
	v_fma_f64 v[30:31], v[134:135], s[6:7], v[30:31]
	s_delay_alu instid0(VALU_DEP_4) | instskip(SKIP_2) | instid1(VALU_DEP_4)
	v_add_f64 v[24:25], v[34:35], v[24:25]
	v_mul_f64 v[34:35], v[168:169], s[34:35]
	v_add_f64 v[26:27], v[26:27], v[56:57]
	v_add_f64 v[30:31], v[30:31], v[186:187]
	;; [unrolled: 1-line block ×3, first 2 shown]
	s_delay_alu instid0(VALU_DEP_4) | instskip(SKIP_1) | instid1(VALU_DEP_2)
	v_fma_f64 v[36:37], v[138:139], s[16:17], -v[34:35]
	v_fma_f64 v[32:33], v[138:139], s[16:17], v[34:35]
	v_add_f64 v[26:27], v[36:37], v[26:27]
	v_mul_f64 v[36:37], v[172:173], s[44:45]
	s_delay_alu instid0(VALU_DEP_3) | instskip(NEXT) | instid1(VALU_DEP_2)
	v_add_f64 v[30:31], v[32:33], v[30:31]
	v_fma_f64 v[38:39], v[140:141], s[14:15], v[36:37]
	v_fma_f64 v[32:33], v[140:141], s[14:15], -v[36:37]
	v_fma_f64 v[36:37], v[158:159], s[2:3], v[224:225]
	s_delay_alu instid0(VALU_DEP_3) | instskip(SKIP_1) | instid1(VALU_DEP_4)
	v_add_f64 v[24:25], v[38:39], v[24:25]
	v_mul_f64 v[38:39], v[174:175], s[44:45]
	v_add_f64 v[28:29], v[32:33], v[28:29]
	s_delay_alu instid0(VALU_DEP_2) | instskip(SKIP_2) | instid1(VALU_DEP_3)
	v_fma_f64 v[40:41], v[142:143], s[14:15], -v[38:39]
	v_fma_f64 v[32:33], v[142:143], s[14:15], v[38:39]
	v_mul_f64 v[38:39], v[164:165], s[20:21]
	v_add_f64 v[26:27], v[40:41], v[26:27]
	v_mul_f64 v[40:41], v[176:177], s[20:21]
	s_delay_alu instid0(VALU_DEP_4) | instskip(NEXT) | instid1(VALU_DEP_2)
	v_add_f64 v[30:31], v[32:33], v[30:31]
	v_fma_f64 v[42:43], v[144:145], s[12:13], v[40:41]
	v_fma_f64 v[32:33], v[144:145], s[12:13], -v[40:41]
	v_mul_f64 v[40:41], v[166:167], s[46:47]
	s_delay_alu instid0(VALU_DEP_3) | instskip(SKIP_1) | instid1(VALU_DEP_4)
	v_add_f64 v[24:25], v[42:43], v[24:25]
	v_mul_f64 v[42:43], v[178:179], s[20:21]
	v_add_f64 v[28:29], v[32:33], v[28:29]
	s_delay_alu instid0(VALU_DEP_2) | instskip(SKIP_3) | instid1(VALU_DEP_4)
	v_fma_f64 v[56:57], v[146:147], s[12:13], -v[42:43]
	v_fma_f64 v[32:33], v[146:147], s[12:13], v[42:43]
	v_fma_f64 v[42:43], v[136:137], s[0:1], v[40:41]
	v_fma_f64 v[40:41], v[136:137], s[0:1], -v[40:41]
	v_add_f64 v[26:27], v[56:57], v[26:27]
	v_mul_f64 v[56:57], v[210:211], s[38:39]
	v_add_f64 v[30:31], v[32:33], v[30:31]
	s_delay_alu instid0(VALU_DEP_2) | instskip(SKIP_1) | instid1(VALU_DEP_2)
	v_fma_f64 v[58:59], v[148:149], s[10:11], v[56:57]
	v_fma_f64 v[32:33], v[148:149], s[10:11], -v[56:57]
	v_add_f64 v[24:25], v[58:59], v[24:25]
	v_mul_f64 v[58:59], v[212:213], s[38:39]
	s_delay_alu instid0(VALU_DEP_3) | instskip(SKIP_2) | instid1(VALU_DEP_2)
	v_add_f64 v[28:29], v[32:33], v[28:29]
	s_mov_b32 s39, 0x3fc7851a
	s_mov_b32 s38, s20
	v_fma_f64 v[170:171], v[150:151], s[10:11], -v[58:59]
	v_fma_f64 v[32:33], v[150:151], s[10:11], v[58:59]
	s_delay_alu instid0(VALU_DEP_2) | instskip(SKIP_1) | instid1(VALU_DEP_3)
	v_add_f64 v[26:27], v[170:171], v[26:27]
	v_mul_f64 v[170:171], v[214:215], s[40:41]
	v_add_f64 v[30:31], v[32:33], v[30:31]
	s_delay_alu instid0(VALU_DEP_2) | instskip(SKIP_1) | instid1(VALU_DEP_2)
	v_fma_f64 v[180:181], v[152:153], s[26:27], v[170:171]
	v_fma_f64 v[32:33], v[152:153], s[26:27], -v[170:171]
	v_add_f64 v[24:25], v[180:181], v[24:25]
	v_mul_f64 v[180:181], v[216:217], s[40:41]
	s_delay_alu instid0(VALU_DEP_3) | instskip(NEXT) | instid1(VALU_DEP_2)
	v_add_f64 v[28:29], v[32:33], v[28:29]
	v_fma_f64 v[32:33], v[154:155], s[26:27], v[180:181]
	v_fma_f64 v[182:183], v[154:155], s[26:27], -v[180:181]
	s_delay_alu instid0(VALU_DEP_2) | instskip(SKIP_1) | instid1(VALU_DEP_3)
	v_add_f64 v[30:31], v[32:33], v[30:31]
	v_fma_f64 v[32:33], v[156:157], s[2:3], -v[220:221]
	v_add_f64 v[182:183], v[182:183], v[26:27]
	v_fma_f64 v[26:27], v[156:157], s[2:3], v[220:221]
	v_mul_f64 v[220:221], v[218:219], s[34:35]
	s_delay_alu instid0(VALU_DEP_4)
	v_add_f64 v[34:35], v[32:33], v[28:29]
	v_add_f64 v[32:33], v[36:37], v[30:31]
	v_mul_f64 v[36:37], v[162:163], s[20:21]
	v_fma_f64 v[30:31], v[134:135], s[12:13], -v[38:39]
	v_add_f64 v[26:27], v[26:27], v[24:25]
	v_fma_f64 v[24:25], v[158:159], s[2:3], -v[224:225]
	v_fma_f64 v[38:39], v[134:135], s[12:13], v[38:39]
	v_mul_f64 v[224:225], v[222:223], s[34:35]
	v_fma_f64 v[28:29], v[132:133], s[12:13], v[36:37]
	v_add_f64 v[30:31], v[30:31], v[196:197]
	v_fma_f64 v[36:37], v[132:133], s[12:13], -v[36:37]
	v_add_f64 v[24:25], v[24:25], v[182:183]
	v_add_f64 v[38:39], v[38:39], v[50:51]
	v_fma_f64 v[50:51], v[158:159], s[16:17], v[224:225]
	v_add_f64 v[28:29], v[28:29], v[188:189]
	v_add_f64 v[36:37], v[36:37], v[198:199]
	s_delay_alu instid0(VALU_DEP_2) | instskip(SKIP_1) | instid1(VALU_DEP_3)
	v_add_f64 v[28:29], v[42:43], v[28:29]
	v_mul_f64 v[42:43], v[168:169], s[46:47]
	v_add_f64 v[36:37], v[40:41], v[36:37]
	s_delay_alu instid0(VALU_DEP_2) | instskip(SKIP_1) | instid1(VALU_DEP_2)
	v_fma_f64 v[56:57], v[138:139], s[0:1], -v[42:43]
	v_fma_f64 v[40:41], v[138:139], s[0:1], v[42:43]
	v_add_f64 v[30:31], v[56:57], v[30:31]
	v_mul_f64 v[56:57], v[172:173], s[30:31]
	s_delay_alu instid0(VALU_DEP_3) | instskip(NEXT) | instid1(VALU_DEP_2)
	v_add_f64 v[38:39], v[40:41], v[38:39]
	v_fma_f64 v[58:59], v[140:141], s[26:27], v[56:57]
	v_fma_f64 v[40:41], v[140:141], s[26:27], -v[56:57]
	v_mul_f64 v[56:57], v[164:165], s[22:23]
	s_delay_alu instid0(VALU_DEP_3) | instskip(SKIP_1) | instid1(VALU_DEP_4)
	v_add_f64 v[28:29], v[58:59], v[28:29]
	v_mul_f64 v[58:59], v[174:175], s[30:31]
	v_add_f64 v[36:37], v[40:41], v[36:37]
	s_delay_alu instid0(VALU_DEP_2) | instskip(SKIP_1) | instid1(VALU_DEP_2)
	v_fma_f64 v[170:171], v[142:143], s[26:27], -v[58:59]
	v_fma_f64 v[40:41], v[142:143], s[26:27], v[58:59]
	v_add_f64 v[30:31], v[170:171], v[30:31]
	v_mul_f64 v[170:171], v[176:177], s[44:45]
	s_delay_alu instid0(VALU_DEP_3) | instskip(NEXT) | instid1(VALU_DEP_2)
	v_add_f64 v[38:39], v[40:41], v[38:39]
	v_fma_f64 v[180:181], v[144:145], s[14:15], v[170:171]
	v_fma_f64 v[40:41], v[144:145], s[14:15], -v[170:171]
	s_delay_alu instid0(VALU_DEP_2) | instskip(SKIP_1) | instid1(VALU_DEP_3)
	v_add_f64 v[28:29], v[180:181], v[28:29]
	v_mul_f64 v[180:181], v[178:179], s[44:45]
	v_add_f64 v[36:37], v[40:41], v[36:37]
	s_delay_alu instid0(VALU_DEP_2) | instskip(SKIP_1) | instid1(VALU_DEP_2)
	v_fma_f64 v[182:183], v[146:147], s[14:15], -v[180:181]
	v_fma_f64 v[40:41], v[146:147], s[14:15], v[180:181]
	v_add_f64 v[30:31], v[182:183], v[30:31]
	v_mul_f64 v[182:183], v[210:211], s[18:19]
	s_delay_alu instid0(VALU_DEP_3) | instskip(NEXT) | instid1(VALU_DEP_2)
	v_add_f64 v[38:39], v[40:41], v[38:39]
	v_fma_f64 v[184:185], v[148:149], s[6:7], v[182:183]
	v_fma_f64 v[40:41], v[148:149], s[6:7], -v[182:183]
	s_delay_alu instid0(VALU_DEP_2) | instskip(SKIP_1) | instid1(VALU_DEP_3)
	;; [unrolled: 13-line block ×3, first 2 shown]
	v_add_f64 v[28:29], v[188:189], v[28:29]
	v_mul_f64 v[188:189], v[216:217], s[48:49]
	v_add_f64 v[36:37], v[40:41], v[36:37]
	s_delay_alu instid0(VALU_DEP_2) | instskip(SKIP_1) | instid1(VALU_DEP_2)
	v_fma_f64 v[40:41], v[154:155], s[2:3], v[188:189]
	v_fma_f64 v[196:197], v[154:155], s[2:3], -v[188:189]
	v_add_f64 v[38:39], v[40:41], v[38:39]
	v_fma_f64 v[40:41], v[156:157], s[16:17], -v[220:221]
	s_delay_alu instid0(VALU_DEP_3) | instskip(SKIP_2) | instid1(VALU_DEP_4)
	v_add_f64 v[196:197], v[196:197], v[30:31]
	v_fma_f64 v[30:31], v[156:157], s[16:17], v[220:221]
	v_mul_f64 v[220:221], v[218:219], s[18:19]
	v_add_f64 v[42:43], v[40:41], v[36:37]
	v_add_f64 v[40:41], v[50:51], v[38:39]
	v_mul_f64 v[50:51], v[162:163], s[22:23]
	v_fma_f64 v[38:39], v[134:135], s[2:3], -v[56:57]
	v_fma_f64 v[56:57], v[134:135], s[2:3], v[56:57]
	v_add_f64 v[30:31], v[30:31], v[28:29]
	v_fma_f64 v[28:29], v[158:159], s[16:17], -v[224:225]
	v_mul_f64 v[224:225], v[222:223], s[18:19]
	v_fma_f64 v[36:37], v[132:133], s[2:3], v[50:51]
	v_add_f64 v[38:39], v[38:39], v[48:49]
	v_mul_f64 v[48:49], v[166:167], s[38:39]
	v_fma_f64 v[50:51], v[132:133], s[2:3], -v[50:51]
	v_add_f64 v[46:47], v[56:57], v[46:47]
	v_add_f64 v[28:29], v[28:29], v[196:197]
	v_fma_f64 v[56:57], v[158:159], s[6:7], v[224:225]
	v_add_f64 v[36:37], v[36:37], v[200:201]
	v_fma_f64 v[58:59], v[136:137], s[12:13], v[48:49]
	v_add_f64 v[50:51], v[50:51], v[202:203]
	v_fma_f64 v[48:49], v[136:137], s[12:13], -v[48:49]
	s_delay_alu instid0(VALU_DEP_3) | instskip(SKIP_1) | instid1(VALU_DEP_3)
	v_add_f64 v[36:37], v[58:59], v[36:37]
	v_mul_f64 v[58:59], v[168:169], s[38:39]
	v_add_f64 v[48:49], v[48:49], v[50:51]
	s_delay_alu instid0(VALU_DEP_2) | instskip(SKIP_3) | instid1(VALU_DEP_4)
	v_fma_f64 v[170:171], v[138:139], s[12:13], -v[58:59]
	v_fma_f64 v[50:51], v[138:139], s[12:13], v[58:59]
	v_mul_f64 v[58:59], v[164:165], s[36:37]
	v_mul_f64 v[164:165], v[164:165], s[42:43]
	v_add_f64 v[38:39], v[170:171], v[38:39]
	v_mul_f64 v[170:171], v[172:173], s[46:47]
	v_add_f64 v[46:47], v[50:51], v[46:47]
	s_delay_alu instid0(VALU_DEP_4) | instskip(NEXT) | instid1(VALU_DEP_3)
	v_fma_f64 v[66:67], v[134:135], s[16:17], -v[164:165]
	v_fma_f64 v[180:181], v[140:141], s[0:1], v[170:171]
	v_fma_f64 v[50:51], v[140:141], s[0:1], -v[170:171]
	v_fma_f64 v[170:171], v[134:135], s[10:11], -v[58:59]
	v_fma_f64 v[58:59], v[134:135], s[10:11], v[58:59]
	v_add_f64 v[66:67], v[66:67], v[130:131]
	v_add_f64 v[36:37], v[180:181], v[36:37]
	v_mul_f64 v[180:181], v[174:175], s[46:47]
	v_add_f64 v[48:49], v[50:51], v[48:49]
	v_add_f64 v[44:45], v[170:171], v[44:45]
	v_mul_f64 v[170:171], v[166:167], s[22:23]
	v_add_f64 v[58:59], v[58:59], v[208:209]
	v_mul_f64 v[166:167], v[166:167], s[44:45]
	v_fma_f64 v[182:183], v[142:143], s[0:1], -v[180:181]
	v_fma_f64 v[50:51], v[142:143], s[0:1], v[180:181]
	v_fma_f64 v[180:181], v[136:137], s[2:3], v[170:171]
	v_fma_f64 v[170:171], v[136:137], s[2:3], -v[170:171]
	v_fma_f64 v[76:77], v[136:137], s[14:15], v[166:167]
	v_add_f64 v[38:39], v[182:183], v[38:39]
	v_mul_f64 v[182:183], v[176:177], s[34:35]
	v_add_f64 v[46:47], v[50:51], v[46:47]
	s_delay_alu instid0(VALU_DEP_2) | instskip(SKIP_1) | instid1(VALU_DEP_2)
	v_fma_f64 v[184:185], v[144:145], s[16:17], v[182:183]
	v_fma_f64 v[50:51], v[144:145], s[16:17], -v[182:183]
	v_add_f64 v[36:37], v[184:185], v[36:37]
	v_mul_f64 v[184:185], v[178:179], s[34:35]
	s_delay_alu instid0(VALU_DEP_3) | instskip(NEXT) | instid1(VALU_DEP_2)
	v_add_f64 v[48:49], v[50:51], v[48:49]
	v_fma_f64 v[186:187], v[146:147], s[16:17], -v[184:185]
	v_fma_f64 v[50:51], v[146:147], s[16:17], v[184:185]
	s_delay_alu instid0(VALU_DEP_2) | instskip(SKIP_1) | instid1(VALU_DEP_3)
	v_add_f64 v[38:39], v[186:187], v[38:39]
	v_mul_f64 v[186:187], v[210:211], s[40:41]
	v_add_f64 v[46:47], v[50:51], v[46:47]
	s_delay_alu instid0(VALU_DEP_2) | instskip(SKIP_1) | instid1(VALU_DEP_2)
	v_fma_f64 v[188:189], v[148:149], s[26:27], v[186:187]
	v_fma_f64 v[50:51], v[148:149], s[26:27], -v[186:187]
	v_add_f64 v[36:37], v[188:189], v[36:37]
	v_mul_f64 v[188:189], v[212:213], s[40:41]
	s_delay_alu instid0(VALU_DEP_3) | instskip(NEXT) | instid1(VALU_DEP_2)
	v_add_f64 v[48:49], v[50:51], v[48:49]
	v_fma_f64 v[196:197], v[150:151], s[26:27], -v[188:189]
	v_fma_f64 v[50:51], v[150:151], s[26:27], v[188:189]
	s_delay_alu instid0(VALU_DEP_2) | instskip(SKIP_1) | instid1(VALU_DEP_3)
	v_add_f64 v[38:39], v[196:197], v[38:39]
	v_mul_f64 v[196:197], v[214:215], s[36:37]
	v_add_f64 v[46:47], v[50:51], v[46:47]
	s_delay_alu instid0(VALU_DEP_2) | instskip(SKIP_1) | instid1(VALU_DEP_2)
	v_fma_f64 v[198:199], v[152:153], s[10:11], v[196:197]
	v_fma_f64 v[50:51], v[152:153], s[10:11], -v[196:197]
	v_add_f64 v[36:37], v[198:199], v[36:37]
	v_mul_f64 v[198:199], v[216:217], s[36:37]
	s_delay_alu instid0(VALU_DEP_3) | instskip(NEXT) | instid1(VALU_DEP_2)
	v_add_f64 v[48:49], v[50:51], v[48:49]
	v_fma_f64 v[50:51], v[154:155], s[10:11], v[198:199]
	v_fma_f64 v[200:201], v[154:155], s[10:11], -v[198:199]
	s_delay_alu instid0(VALU_DEP_2) | instskip(SKIP_1) | instid1(VALU_DEP_3)
	v_add_f64 v[46:47], v[50:51], v[46:47]
	v_fma_f64 v[50:51], v[156:157], s[6:7], -v[220:221]
	v_add_f64 v[200:201], v[200:201], v[38:39]
	v_fma_f64 v[38:39], v[156:157], s[6:7], v[220:221]
	s_delay_alu instid0(VALU_DEP_3) | instskip(SKIP_2) | instid1(VALU_DEP_4)
	v_add_f64 v[50:51], v[50:51], v[48:49]
	v_add_f64 v[48:49], v[56:57], v[46:47]
	v_mul_f64 v[56:57], v[162:163], s[36:37]
	v_add_f64 v[38:39], v[38:39], v[36:37]
	v_fma_f64 v[36:37], v[158:159], s[6:7], -v[224:225]
	v_mul_f64 v[162:163], v[162:163], s[42:43]
	s_delay_alu instid0(VALU_DEP_4) | instskip(SKIP_1) | instid1(VALU_DEP_4)
	v_fma_f64 v[46:47], v[132:133], s[10:11], v[56:57]
	v_fma_f64 v[56:57], v[132:133], s[10:11], -v[56:57]
	v_add_f64 v[36:37], v[36:37], v[200:201]
	s_delay_alu instid0(VALU_DEP_4) | instskip(NEXT) | instid1(VALU_DEP_4)
	v_fma_f64 v[64:65], v[132:133], s[16:17], v[162:163]
	v_add_f64 v[46:47], v[46:47], v[204:205]
	s_delay_alu instid0(VALU_DEP_4) | instskip(NEXT) | instid1(VALU_DEP_3)
	v_add_f64 v[56:57], v[56:57], v[206:207]
	v_add_f64 v[64:65], v[64:65], v[128:129]
	s_delay_alu instid0(VALU_DEP_3) | instskip(SKIP_1) | instid1(VALU_DEP_4)
	v_add_f64 v[46:47], v[180:181], v[46:47]
	v_mul_f64 v[180:181], v[168:169], s[22:23]
	v_add_f64 v[56:57], v[170:171], v[56:57]
	s_delay_alu instid0(VALU_DEP_4) | instskip(NEXT) | instid1(VALU_DEP_3)
	v_add_f64 v[64:65], v[76:77], v[64:65]
	v_fma_f64 v[182:183], v[138:139], s[2:3], -v[180:181]
	v_fma_f64 v[170:171], v[138:139], s[2:3], v[180:181]
	s_delay_alu instid0(VALU_DEP_2) | instskip(SKIP_1) | instid1(VALU_DEP_3)
	v_add_f64 v[44:45], v[182:183], v[44:45]
	v_mul_f64 v[182:183], v[172:173], s[20:21]
	v_add_f64 v[58:59], v[170:171], v[58:59]
	s_delay_alu instid0(VALU_DEP_2) | instskip(SKIP_2) | instid1(VALU_DEP_3)
	v_fma_f64 v[184:185], v[140:141], s[12:13], v[182:183]
	v_fma_f64 v[170:171], v[140:141], s[12:13], -v[182:183]
	v_mul_f64 v[182:183], v[212:213], s[22:23]
	v_add_f64 v[46:47], v[184:185], v[46:47]
	v_mul_f64 v[184:185], v[174:175], s[20:21]
	s_delay_alu instid0(VALU_DEP_4) | instskip(SKIP_1) | instid1(VALU_DEP_3)
	v_add_f64 v[56:57], v[170:171], v[56:57]
	v_mul_f64 v[174:175], v[174:175], s[36:37]
	v_fma_f64 v[186:187], v[142:143], s[12:13], -v[184:185]
	v_fma_f64 v[170:171], v[142:143], s[12:13], v[184:185]
	s_delay_alu instid0(VALU_DEP_3) | instskip(NEXT) | instid1(VALU_DEP_3)
	v_fma_f64 v[82:83], v[142:143], s[10:11], -v[174:175]
	v_add_f64 v[44:45], v[186:187], v[44:45]
	v_mul_f64 v[186:187], v[176:177], s[50:51]
	s_delay_alu instid0(VALU_DEP_4) | instskip(NEXT) | instid1(VALU_DEP_2)
	v_add_f64 v[58:59], v[170:171], v[58:59]
	v_fma_f64 v[188:189], v[144:145], s[6:7], v[186:187]
	v_fma_f64 v[170:171], v[144:145], s[6:7], -v[186:187]
	v_mul_f64 v[186:187], v[222:223], s[20:21]
	s_delay_alu instid0(VALU_DEP_3) | instskip(SKIP_1) | instid1(VALU_DEP_4)
	v_add_f64 v[46:47], v[188:189], v[46:47]
	v_mul_f64 v[188:189], v[178:179], s[50:51]
	v_add_f64 v[56:57], v[170:171], v[56:57]
	v_mul_f64 v[178:179], v[178:179], s[24:25]
	s_delay_alu instid0(VALU_DEP_3) | instskip(SKIP_2) | instid1(VALU_DEP_3)
	v_fma_f64 v[196:197], v[146:147], s[6:7], -v[188:189]
	v_fma_f64 v[170:171], v[146:147], s[6:7], v[188:189]
	v_mul_f64 v[188:189], v[216:217], s[18:19]
	v_add_f64 v[44:45], v[196:197], v[44:45]
	v_mul_f64 v[196:197], v[210:211], s[46:47]
	s_delay_alu instid0(VALU_DEP_4) | instskip(NEXT) | instid1(VALU_DEP_2)
	v_add_f64 v[58:59], v[170:171], v[58:59]
	v_fma_f64 v[198:199], v[148:149], s[0:1], v[196:197]
	v_fma_f64 v[170:171], v[148:149], s[0:1], -v[196:197]
	s_delay_alu instid0(VALU_DEP_2) | instskip(SKIP_1) | instid1(VALU_DEP_3)
	v_add_f64 v[46:47], v[198:199], v[46:47]
	v_mul_f64 v[198:199], v[212:213], s[46:47]
	v_add_f64 v[56:57], v[170:171], v[56:57]
	s_delay_alu instid0(VALU_DEP_2) | instskip(SKIP_1) | instid1(VALU_DEP_2)
	v_fma_f64 v[200:201], v[150:151], s[0:1], -v[198:199]
	v_fma_f64 v[170:171], v[150:151], s[0:1], v[198:199]
	v_add_f64 v[44:45], v[200:201], v[44:45]
	v_mul_f64 v[200:201], v[214:215], s[28:29]
	s_delay_alu instid0(VALU_DEP_3) | instskip(NEXT) | instid1(VALU_DEP_2)
	v_add_f64 v[58:59], v[170:171], v[58:59]
	v_fma_f64 v[202:203], v[152:153], s[14:15], v[200:201]
	v_fma_f64 v[170:171], v[152:153], s[14:15], -v[200:201]
	s_delay_alu instid0(VALU_DEP_2) | instskip(SKIP_1) | instid1(VALU_DEP_3)
	v_add_f64 v[46:47], v[202:203], v[46:47]
	v_mul_f64 v[202:203], v[216:217], s[28:29]
	v_add_f64 v[56:57], v[170:171], v[56:57]
	s_delay_alu instid0(VALU_DEP_2) | instskip(SKIP_1) | instid1(VALU_DEP_2)
	v_fma_f64 v[204:205], v[154:155], s[14:15], -v[202:203]
	v_fma_f64 v[170:171], v[154:155], s[14:15], v[202:203]
	v_add_f64 v[44:45], v[204:205], v[44:45]
	v_mul_f64 v[204:205], v[218:219], s[30:31]
	s_delay_alu instid0(VALU_DEP_3) | instskip(NEXT) | instid1(VALU_DEP_2)
	v_add_f64 v[170:171], v[170:171], v[58:59]
	v_fma_f64 v[220:221], v[156:157], s[26:27], v[204:205]
	v_fma_f64 v[58:59], v[156:157], s[26:27], -v[204:205]
	s_delay_alu instid0(VALU_DEP_2) | instskip(SKIP_1) | instid1(VALU_DEP_3)
	v_add_f64 v[46:47], v[220:221], v[46:47]
	v_mul_f64 v[220:221], v[222:223], s[30:31]
	v_add_f64 v[58:59], v[58:59], v[56:57]
	s_delay_alu instid0(VALU_DEP_2) | instskip(SKIP_1) | instid1(VALU_DEP_2)
	v_fma_f64 v[180:181], v[158:159], s[26:27], v[220:221]
	v_fma_f64 v[224:225], v[158:159], s[26:27], -v[220:221]
	v_add_f64 v[56:57], v[180:181], v[170:171]
	v_fma_f64 v[170:171], v[132:133], s[16:17], -v[162:163]
	s_delay_alu instid0(VALU_DEP_3) | instskip(NEXT) | instid1(VALU_DEP_2)
	v_add_f64 v[44:45], v[224:225], v[44:45]
	v_add_f64 v[54:55], v[170:171], v[54:55]
	v_fma_f64 v[170:171], v[134:135], s[16:17], v[164:165]
	s_delay_alu instid0(VALU_DEP_1) | instskip(SKIP_1) | instid1(VALU_DEP_1)
	v_add_f64 v[52:53], v[170:171], v[52:53]
	v_fma_f64 v[170:171], v[136:137], s[14:15], -v[166:167]
	v_add_f64 v[54:55], v[170:171], v[54:55]
	v_mul_f64 v[170:171], v[168:169], s[44:45]
	s_delay_alu instid0(VALU_DEP_1) | instskip(SKIP_1) | instid1(VALU_DEP_2)
	v_fma_f64 v[168:169], v[138:139], s[14:15], v[170:171]
	v_fma_f64 v[78:79], v[138:139], s[14:15], -v[170:171]
	v_add_f64 v[52:53], v[168:169], v[52:53]
	v_mul_f64 v[168:169], v[172:173], s[36:37]
	s_delay_alu instid0(VALU_DEP_3) | instskip(SKIP_1) | instid1(VALU_DEP_3)
	v_add_f64 v[66:67], v[78:79], v[66:67]
	v_fma_f64 v[78:79], v[146:147], s[0:1], -v[178:179]
	v_fma_f64 v[172:173], v[140:141], s[10:11], -v[168:169]
	v_fma_f64 v[80:81], v[140:141], s[10:11], v[168:169]
	s_delay_alu instid0(VALU_DEP_4) | instskip(SKIP_1) | instid1(VALU_DEP_4)
	v_add_f64 v[66:67], v[82:83], v[66:67]
	v_fma_f64 v[82:83], v[150:151], s[2:3], -v[182:183]
	v_add_f64 v[54:55], v[172:173], v[54:55]
	v_fma_f64 v[172:173], v[142:143], s[10:11], v[174:175]
	v_add_f64 v[64:65], v[80:81], v[64:65]
	v_add_f64 v[66:67], v[78:79], v[66:67]
	v_fma_f64 v[78:79], v[154:155], s[6:7], -v[188:189]
	s_delay_alu instid0(VALU_DEP_4) | instskip(SKIP_1) | instid1(VALU_DEP_4)
	v_add_f64 v[52:53], v[172:173], v[52:53]
	v_mul_f64 v[172:173], v[176:177], s[24:25]
	v_add_f64 v[66:67], v[82:83], v[66:67]
	v_fma_f64 v[82:83], v[158:159], s[12:13], -v[186:187]
	s_delay_alu instid0(VALU_DEP_3) | instskip(SKIP_1) | instid1(VALU_DEP_2)
	v_fma_f64 v[176:177], v[144:145], s[0:1], -v[172:173]
	v_fma_f64 v[76:77], v[144:145], s[0:1], v[172:173]
	v_add_f64 v[54:55], v[176:177], v[54:55]
	v_fma_f64 v[176:177], v[146:147], s[0:1], v[178:179]
	s_delay_alu instid0(VALU_DEP_3) | instskip(NEXT) | instid1(VALU_DEP_2)
	v_add_f64 v[64:65], v[76:77], v[64:65]
	v_add_f64 v[52:53], v[176:177], v[52:53]
	v_mul_f64 v[176:177], v[210:211], s[22:23]
	s_delay_alu instid0(VALU_DEP_1) | instskip(SKIP_1) | instid1(VALU_DEP_2)
	v_fma_f64 v[180:181], v[148:149], s[2:3], -v[176:177]
	v_fma_f64 v[80:81], v[148:149], s[2:3], v[176:177]
	v_add_f64 v[54:55], v[180:181], v[54:55]
	v_fma_f64 v[180:181], v[150:151], s[2:3], v[182:183]
	s_delay_alu instid0(VALU_DEP_3) | instskip(NEXT) | instid1(VALU_DEP_2)
	v_add_f64 v[64:65], v[80:81], v[64:65]
	v_add_f64 v[52:53], v[180:181], v[52:53]
	v_mul_f64 v[180:181], v[214:215], s[18:19]
	s_delay_alu instid0(VALU_DEP_1) | instskip(SKIP_1) | instid1(VALU_DEP_2)
	v_fma_f64 v[184:185], v[152:153], s[6:7], -v[180:181]
	v_fma_f64 v[76:77], v[152:153], s[6:7], v[180:181]
	v_add_f64 v[54:55], v[184:185], v[54:55]
	v_fma_f64 v[184:185], v[154:155], s[6:7], v[188:189]
	s_delay_alu instid0(VALU_DEP_3) | instskip(SKIP_1) | instid1(VALU_DEP_3)
	v_add_f64 v[64:65], v[76:77], v[64:65]
	v_add_f64 v[76:77], v[78:79], v[66:67]
	;; [unrolled: 1-line block ×3, first 2 shown]
	v_mul_f64 v[184:185], v[218:219], s[20:21]
	s_delay_alu instid0(VALU_DEP_1) | instskip(SKIP_1) | instid1(VALU_DEP_2)
	v_fma_f64 v[196:197], v[156:157], s[12:13], -v[184:185]
	v_fma_f64 v[80:81], v[156:157], s[12:13], v[184:185]
	v_add_f64 v[54:55], v[196:197], v[54:55]
	v_fma_f64 v[196:197], v[158:159], s[12:13], v[186:187]
	s_delay_alu instid0(VALU_DEP_3) | instskip(SKIP_1) | instid1(VALU_DEP_3)
	v_add_f64 v[66:67], v[80:81], v[64:65]
	v_add_f64 v[64:65], v[82:83], v[76:77]
	v_add_f64 v[52:53], v[196:197], v[52:53]
	ds_store_b128 v69, v[56:59] offset:1664
	ds_store_b128 v69, v[48:51] offset:2496
	;; [unrolled: 1-line block ×15, first 2 shown]
	ds_store_b128 v192, v[60:63]
	ds_store_b128 v69, v[64:67] offset:13312
.LBB0_20:
	s_or_b32 exec_lo, exec_lo, s33
	s_waitcnt lgkmcnt(0)
	s_barrier
	buffer_gl0_inv
	ds_load_b128 v[4:7], v192
	v_sub_nc_u32_e32 v10, v193, v73
	s_add_u32 s1, s4, 0x3670
	s_addc_u32 s2, s5, 0
	s_mov_b32 s3, exec_lo
                                        ; implicit-def: $vgpr2_vgpr3
                                        ; implicit-def: $vgpr8_vgpr9
	v_cmpx_ne_u32_e32 0, v68
	s_xor_b32 s3, exec_lo, s3
	s_cbranch_execz .LBB0_22
; %bb.21:
	v_mov_b32_e32 v69, 0
	s_delay_alu instid0(VALU_DEP_1) | instskip(NEXT) | instid1(VALU_DEP_1)
	v_lshlrev_b64 v[0:1], 4, v[68:69]
	v_add_co_u32 v0, s0, s1, v0
	s_delay_alu instid0(VALU_DEP_1)
	v_add_co_ci_u32_e64 v1, s0, s2, v1, s0
	global_load_b128 v[11:14], v[0:1], off
	ds_load_b128 v[0:3], v10 offset:14144
	s_waitcnt lgkmcnt(0)
	v_add_f64 v[8:9], v[4:5], -v[0:1]
	v_add_f64 v[15:16], v[6:7], v[2:3]
	v_add_f64 v[2:3], v[6:7], -v[2:3]
	v_add_f64 v[0:1], v[4:5], v[0:1]
	s_delay_alu instid0(VALU_DEP_4) | instskip(NEXT) | instid1(VALU_DEP_4)
	v_mul_f64 v[6:7], v[8:9], 0.5
	v_mul_f64 v[4:5], v[15:16], 0.5
	s_delay_alu instid0(VALU_DEP_4) | instskip(SKIP_1) | instid1(VALU_DEP_3)
	v_mul_f64 v[2:3], v[2:3], 0.5
	s_waitcnt vmcnt(0)
	v_mul_f64 v[8:9], v[6:7], v[13:14]
	s_delay_alu instid0(VALU_DEP_2) | instskip(SKIP_1) | instid1(VALU_DEP_3)
	v_fma_f64 v[15:16], v[4:5], v[13:14], v[2:3]
	v_fma_f64 v[2:3], v[4:5], v[13:14], -v[2:3]
	v_fma_f64 v[17:18], v[0:1], 0.5, v[8:9]
	v_fma_f64 v[0:1], v[0:1], 0.5, -v[8:9]
	s_delay_alu instid0(VALU_DEP_4) | instskip(NEXT) | instid1(VALU_DEP_4)
	v_fma_f64 v[8:9], -v[11:12], v[6:7], v[15:16]
	v_fma_f64 v[2:3], -v[11:12], v[6:7], v[2:3]
	s_delay_alu instid0(VALU_DEP_4) | instskip(NEXT) | instid1(VALU_DEP_4)
	v_fma_f64 v[13:14], v[4:5], v[11:12], v[17:18]
	v_fma_f64 v[0:1], -v[4:5], v[11:12], v[0:1]
                                        ; implicit-def: $vgpr4_vgpr5
	ds_store_b64 v192, v[13:14]
.LBB0_22:
	s_and_not1_saveexec_b32 s0, s3
	s_cbranch_execz .LBB0_24
; %bb.23:
	s_waitcnt lgkmcnt(0)
	v_add_f64 v[11:12], v[4:5], v[6:7]
	v_add_f64 v[0:1], v[4:5], -v[6:7]
	ds_load_b64 v[4:5], v193 offset:7080
	v_mov_b32_e32 v8, 0
	v_mov_b32_e32 v9, 0
	s_delay_alu instid0(VALU_DEP_1)
	v_dual_mov_b32 v2, v8 :: v_dual_mov_b32 v3, v9
	s_waitcnt lgkmcnt(0)
	v_xor_b32_e32 v5, 0x80000000, v5
	ds_store_b64 v192, v[11:12]
	ds_store_b64 v193, v[4:5] offset:7080
.LBB0_24:
	s_or_b32 exec_lo, exec_lo, s0
	v_mov_b32_e32 v73, 0
	v_lshl_add_u32 v23, v74, 4, v193
	s_mov_b32 s3, exec_lo
	s_waitcnt lgkmcnt(0)
	s_delay_alu instid0(VALU_DEP_2) | instskip(SKIP_2) | instid1(VALU_DEP_3)
	v_lshlrev_b64 v[4:5], 4, v[72:73]
	v_add_nc_u32_e32 v72, 0x110, v68
	v_mov_b32_e32 v76, v73
	v_add_co_u32 v4, s0, s1, v4
	s_delay_alu instid0(VALU_DEP_1) | instskip(NEXT) | instid1(VALU_DEP_3)
	v_add_co_ci_u32_e64 v5, s0, s2, v5, s0
	v_lshlrev_b64 v[11:12], 4, v[75:76]
	v_mov_b32_e32 v75, v73
	global_load_b128 v[4:7], v[4:5], off
	v_add_co_u32 v11, s0, s1, v11
	s_delay_alu instid0(VALU_DEP_1)
	v_add_co_ci_u32_e64 v12, s0, s2, v12, s0
	global_load_b128 v[11:14], v[11:12], off
	ds_store_b64 v192, v[8:9] offset:8
	ds_store_b128 v10, v[0:3] offset:14144
	ds_load_b128 v[0:3], v195
	ds_load_b128 v[15:18], v10 offset:13056
	s_waitcnt lgkmcnt(0)
	v_add_f64 v[8:9], v[0:1], -v[15:16]
	v_add_f64 v[19:20], v[2:3], v[17:18]
	v_add_f64 v[2:3], v[2:3], -v[17:18]
	v_add_f64 v[0:1], v[0:1], v[15:16]
	s_delay_alu instid0(VALU_DEP_4) | instskip(NEXT) | instid1(VALU_DEP_4)
	v_mul_f64 v[8:9], v[8:9], 0.5
	v_mul_f64 v[17:18], v[19:20], 0.5
	s_delay_alu instid0(VALU_DEP_4) | instskip(SKIP_1) | instid1(VALU_DEP_3)
	v_mul_f64 v[2:3], v[2:3], 0.5
	s_waitcnt vmcnt(1)
	v_mul_f64 v[15:16], v[8:9], v[6:7]
	s_delay_alu instid0(VALU_DEP_2) | instskip(SKIP_1) | instid1(VALU_DEP_3)
	v_fma_f64 v[19:20], v[17:18], v[6:7], v[2:3]
	v_fma_f64 v[6:7], v[17:18], v[6:7], -v[2:3]
	v_fma_f64 v[21:22], v[0:1], 0.5, v[15:16]
	v_fma_f64 v[15:16], v[0:1], 0.5, -v[15:16]
	s_delay_alu instid0(VALU_DEP_4) | instskip(NEXT) | instid1(VALU_DEP_4)
	v_fma_f64 v[2:3], -v[4:5], v[8:9], v[19:20]
	v_fma_f64 v[6:7], -v[4:5], v[8:9], v[6:7]
	v_lshlrev_b64 v[8:9], 4, v[74:75]
	s_delay_alu instid0(VALU_DEP_1) | instskip(NEXT) | instid1(VALU_DEP_1)
	v_add_co_u32 v8, s0, s1, v8
	v_add_co_ci_u32_e64 v9, s0, s2, v9, s0
	v_fma_f64 v[0:1], v[17:18], v[4:5], v[21:22]
	v_fma_f64 v[4:5], -v[17:18], v[4:5], v[15:16]
	global_load_b128 v[15:18], v[8:9], off
	ds_store_b128 v195, v[0:3]
	ds_store_b128 v10, v[4:7] offset:13056
	ds_load_b128 v[0:3], v194
	ds_load_b128 v[4:7], v10 offset:11968
	s_waitcnt lgkmcnt(0)
	v_add_f64 v[8:9], v[0:1], -v[4:5]
	v_add_f64 v[19:20], v[2:3], v[6:7]
	v_add_f64 v[2:3], v[2:3], -v[6:7]
	v_add_f64 v[0:1], v[0:1], v[4:5]
	s_delay_alu instid0(VALU_DEP_4) | instskip(NEXT) | instid1(VALU_DEP_4)
	v_mul_f64 v[6:7], v[8:9], 0.5
	v_mul_f64 v[8:9], v[19:20], 0.5
	s_delay_alu instid0(VALU_DEP_4) | instskip(SKIP_1) | instid1(VALU_DEP_3)
	v_mul_f64 v[2:3], v[2:3], 0.5
	s_waitcnt vmcnt(1)
	v_mul_f64 v[4:5], v[6:7], v[13:14]
	s_delay_alu instid0(VALU_DEP_2) | instskip(SKIP_1) | instid1(VALU_DEP_3)
	v_fma_f64 v[19:20], v[8:9], v[13:14], v[2:3]
	v_fma_f64 v[13:14], v[8:9], v[13:14], -v[2:3]
	v_fma_f64 v[21:22], v[0:1], 0.5, v[4:5]
	v_fma_f64 v[4:5], v[0:1], 0.5, -v[4:5]
	s_delay_alu instid0(VALU_DEP_4) | instskip(NEXT) | instid1(VALU_DEP_4)
	v_fma_f64 v[2:3], -v[11:12], v[6:7], v[19:20]
	v_fma_f64 v[6:7], -v[11:12], v[6:7], v[13:14]
	s_delay_alu instid0(VALU_DEP_4) | instskip(NEXT) | instid1(VALU_DEP_4)
	v_fma_f64 v[0:1], v[8:9], v[11:12], v[21:22]
	v_fma_f64 v[4:5], -v[8:9], v[11:12], v[4:5]
	v_lshlrev_b64 v[8:9], 4, v[72:73]
	v_add_nc_u32_e32 v72, 0x154, v68
	s_delay_alu instid0(VALU_DEP_2) | instskip(NEXT) | instid1(VALU_DEP_1)
	v_add_co_u32 v8, s0, s1, v8
	v_add_co_ci_u32_e64 v9, s0, s2, v9, s0
	global_load_b128 v[11:14], v[8:9], off
	ds_store_b128 v194, v[0:3]
	ds_store_b128 v10, v[4:7] offset:11968
	ds_load_b128 v[0:3], v23
	ds_load_b128 v[4:7], v10 offset:10880
	s_waitcnt lgkmcnt(0)
	v_add_f64 v[8:9], v[0:1], -v[4:5]
	v_add_f64 v[19:20], v[2:3], v[6:7]
	v_add_f64 v[2:3], v[2:3], -v[6:7]
	v_add_f64 v[0:1], v[0:1], v[4:5]
	s_delay_alu instid0(VALU_DEP_4) | instskip(NEXT) | instid1(VALU_DEP_4)
	v_mul_f64 v[6:7], v[8:9], 0.5
	v_mul_f64 v[8:9], v[19:20], 0.5
	s_delay_alu instid0(VALU_DEP_4) | instskip(SKIP_1) | instid1(VALU_DEP_3)
	v_mul_f64 v[2:3], v[2:3], 0.5
	s_waitcnt vmcnt(1)
	v_mul_f64 v[4:5], v[6:7], v[17:18]
	s_delay_alu instid0(VALU_DEP_2) | instskip(SKIP_1) | instid1(VALU_DEP_3)
	v_fma_f64 v[19:20], v[8:9], v[17:18], v[2:3]
	v_fma_f64 v[17:18], v[8:9], v[17:18], -v[2:3]
	v_fma_f64 v[21:22], v[0:1], 0.5, v[4:5]
	v_fma_f64 v[4:5], v[0:1], 0.5, -v[4:5]
	s_delay_alu instid0(VALU_DEP_4) | instskip(NEXT) | instid1(VALU_DEP_4)
	v_fma_f64 v[2:3], -v[15:16], v[6:7], v[19:20]
	v_fma_f64 v[6:7], -v[15:16], v[6:7], v[17:18]
	s_delay_alu instid0(VALU_DEP_4) | instskip(NEXT) | instid1(VALU_DEP_4)
	v_fma_f64 v[0:1], v[8:9], v[15:16], v[21:22]
	v_fma_f64 v[4:5], -v[8:9], v[15:16], v[4:5]
	v_lshlrev_b64 v[8:9], 4, v[72:73]
	s_delay_alu instid0(VALU_DEP_1) | instskip(NEXT) | instid1(VALU_DEP_1)
	v_add_co_u32 v8, s0, s1, v8
	v_add_co_ci_u32_e64 v9, s0, s2, v9, s0
	global_load_b128 v[15:18], v[8:9], off
	ds_store_b128 v23, v[0:3]
	ds_store_b128 v10, v[4:7] offset:10880
	ds_load_b128 v[0:3], v192 offset:4352
	ds_load_b128 v[4:7], v10 offset:9792
	s_waitcnt lgkmcnt(0)
	v_add_f64 v[8:9], v[0:1], -v[4:5]
	v_add_f64 v[19:20], v[2:3], v[6:7]
	v_add_f64 v[2:3], v[2:3], -v[6:7]
	v_add_f64 v[0:1], v[0:1], v[4:5]
	s_delay_alu instid0(VALU_DEP_4) | instskip(NEXT) | instid1(VALU_DEP_4)
	v_mul_f64 v[6:7], v[8:9], 0.5
	v_mul_f64 v[8:9], v[19:20], 0.5
	s_delay_alu instid0(VALU_DEP_4) | instskip(SKIP_1) | instid1(VALU_DEP_3)
	v_mul_f64 v[2:3], v[2:3], 0.5
	s_waitcnt vmcnt(1)
	v_mul_f64 v[4:5], v[6:7], v[13:14]
	s_delay_alu instid0(VALU_DEP_2) | instskip(SKIP_1) | instid1(VALU_DEP_3)
	v_fma_f64 v[19:20], v[8:9], v[13:14], v[2:3]
	v_fma_f64 v[13:14], v[8:9], v[13:14], -v[2:3]
	v_fma_f64 v[21:22], v[0:1], 0.5, v[4:5]
	v_fma_f64 v[4:5], v[0:1], 0.5, -v[4:5]
	s_delay_alu instid0(VALU_DEP_4) | instskip(NEXT) | instid1(VALU_DEP_4)
	v_fma_f64 v[2:3], -v[11:12], v[6:7], v[19:20]
	v_fma_f64 v[6:7], -v[11:12], v[6:7], v[13:14]
	s_delay_alu instid0(VALU_DEP_4) | instskip(NEXT) | instid1(VALU_DEP_4)
	v_fma_f64 v[0:1], v[8:9], v[11:12], v[21:22]
	v_fma_f64 v[4:5], -v[8:9], v[11:12], v[4:5]
	ds_store_b128 v192, v[0:3] offset:4352
	ds_store_b128 v10, v[4:7] offset:9792
	ds_load_b128 v[0:3], v192 offset:5440
	ds_load_b128 v[4:7], v10 offset:8704
	s_waitcnt lgkmcnt(0)
	v_add_f64 v[8:9], v[0:1], -v[4:5]
	v_add_f64 v[11:12], v[2:3], v[6:7]
	v_add_f64 v[2:3], v[2:3], -v[6:7]
	v_add_f64 v[0:1], v[0:1], v[4:5]
	s_delay_alu instid0(VALU_DEP_4) | instskip(NEXT) | instid1(VALU_DEP_4)
	v_mul_f64 v[6:7], v[8:9], 0.5
	v_mul_f64 v[8:9], v[11:12], 0.5
	s_delay_alu instid0(VALU_DEP_4) | instskip(SKIP_1) | instid1(VALU_DEP_3)
	v_mul_f64 v[2:3], v[2:3], 0.5
	s_waitcnt vmcnt(0)
	v_mul_f64 v[4:5], v[6:7], v[17:18]
	s_delay_alu instid0(VALU_DEP_2) | instskip(SKIP_1) | instid1(VALU_DEP_3)
	v_fma_f64 v[11:12], v[8:9], v[17:18], v[2:3]
	v_fma_f64 v[13:14], v[8:9], v[17:18], -v[2:3]
	v_fma_f64 v[17:18], v[0:1], 0.5, v[4:5]
	v_fma_f64 v[4:5], v[0:1], 0.5, -v[4:5]
	s_delay_alu instid0(VALU_DEP_4) | instskip(NEXT) | instid1(VALU_DEP_4)
	v_fma_f64 v[2:3], -v[15:16], v[6:7], v[11:12]
	v_fma_f64 v[6:7], -v[15:16], v[6:7], v[13:14]
	s_delay_alu instid0(VALU_DEP_4) | instskip(NEXT) | instid1(VALU_DEP_4)
	v_fma_f64 v[0:1], v[8:9], v[15:16], v[17:18]
	v_fma_f64 v[4:5], -v[8:9], v[15:16], v[4:5]
	ds_store_b128 v192, v[0:3] offset:5440
	ds_store_b128 v10, v[4:7] offset:8704
	v_cmpx_gt_u32_e32 34, v68
	s_cbranch_execz .LBB0_26
; %bb.25:
	v_add_nc_u32_e32 v72, 0x198, v68
	s_delay_alu instid0(VALU_DEP_1) | instskip(NEXT) | instid1(VALU_DEP_1)
	v_lshlrev_b64 v[0:1], 4, v[72:73]
	v_add_co_u32 v0, s0, s1, v0
	s_delay_alu instid0(VALU_DEP_1)
	v_add_co_ci_u32_e64 v1, s0, s2, v1, s0
	global_load_b128 v[0:3], v[0:1], off
	ds_load_b128 v[4:7], v192 offset:6528
	ds_load_b128 v[11:14], v10 offset:7616
	s_waitcnt lgkmcnt(0)
	v_add_f64 v[8:9], v[4:5], -v[11:12]
	v_add_f64 v[15:16], v[6:7], v[13:14]
	v_add_f64 v[6:7], v[6:7], -v[13:14]
	v_add_f64 v[4:5], v[4:5], v[11:12]
	s_delay_alu instid0(VALU_DEP_4) | instskip(NEXT) | instid1(VALU_DEP_4)
	v_mul_f64 v[8:9], v[8:9], 0.5
	v_mul_f64 v[13:14], v[15:16], 0.5
	s_delay_alu instid0(VALU_DEP_4) | instskip(SKIP_1) | instid1(VALU_DEP_3)
	v_mul_f64 v[6:7], v[6:7], 0.5
	s_waitcnt vmcnt(0)
	v_mul_f64 v[11:12], v[8:9], v[2:3]
	s_delay_alu instid0(VALU_DEP_2) | instskip(SKIP_1) | instid1(VALU_DEP_3)
	v_fma_f64 v[15:16], v[13:14], v[2:3], v[6:7]
	v_fma_f64 v[2:3], v[13:14], v[2:3], -v[6:7]
	v_fma_f64 v[6:7], v[4:5], 0.5, v[11:12]
	v_fma_f64 v[11:12], v[4:5], 0.5, -v[11:12]
	s_delay_alu instid0(VALU_DEP_4) | instskip(NEXT) | instid1(VALU_DEP_4)
	v_fma_f64 v[4:5], -v[0:1], v[8:9], v[15:16]
	v_fma_f64 v[8:9], -v[0:1], v[8:9], v[2:3]
	s_delay_alu instid0(VALU_DEP_4) | instskip(NEXT) | instid1(VALU_DEP_4)
	v_fma_f64 v[2:3], v[13:14], v[0:1], v[6:7]
	v_fma_f64 v[6:7], -v[13:14], v[0:1], v[11:12]
	ds_store_b128 v192, v[2:5] offset:6528
	ds_store_b128 v10, v[6:9] offset:7616
.LBB0_26:
	s_or_b32 exec_lo, exec_lo, s3
	s_waitcnt lgkmcnt(0)
	s_barrier
	buffer_gl0_inv
	s_and_saveexec_b32 s0, vcc_lo
	s_cbranch_execz .LBB0_29
; %bb.27:
	v_mov_b32_e32 v69, 0
	ds_load_b128 v[2:5], v192
	ds_load_b128 v[6:9], v192 offset:1088
	v_add_co_u32 v0, vcc_lo, s8, v70
	v_add_co_ci_u32_e32 v1, vcc_lo, s9, v71, vcc_lo
	v_lshlrev_b64 v[10:11], 4, v[68:69]
	s_delay_alu instid0(VALU_DEP_1) | instskip(NEXT) | instid1(VALU_DEP_2)
	v_add_co_u32 v46, vcc_lo, v0, v10
	v_add_co_ci_u32_e32 v47, vcc_lo, v1, v11, vcc_lo
	ds_load_b128 v[10:13], v192 offset:2176
	ds_load_b128 v[14:17], v192 offset:3264
	;; [unrolled: 1-line block ×6, first 2 shown]
	v_add_co_u32 v48, vcc_lo, 0x1000, v46
	v_add_co_ci_u32_e32 v49, vcc_lo, 0, v47, vcc_lo
	s_waitcnt lgkmcnt(7)
	global_store_b128 v[46:47], v[2:5], off
	s_waitcnt lgkmcnt(6)
	global_store_b128 v[46:47], v[6:9], off offset:1088
	ds_load_b128 v[2:5], v192 offset:8704
	ds_load_b128 v[6:9], v192 offset:9792
	;; [unrolled: 1-line block ×5, first 2 shown]
	s_waitcnt lgkmcnt(10)
	global_store_b128 v[46:47], v[10:13], off offset:2176
	s_waitcnt lgkmcnt(9)
	global_store_b128 v[46:47], v[14:17], off offset:3264
	;; [unrolled: 2-line block ×6, first 2 shown]
	v_add_co_u32 v10, vcc_lo, 0x2000, v46
	v_add_co_ci_u32_e32 v11, vcc_lo, 0, v47, vcc_lo
	v_add_co_u32 v12, vcc_lo, 0x3000, v46
	v_add_co_ci_u32_e32 v13, vcc_lo, 0, v47, vcc_lo
	v_cmp_eq_u32_e32 vcc_lo, 0x43, v68
	s_waitcnt lgkmcnt(4)
	global_store_b128 v[10:11], v[2:5], off offset:512
	s_waitcnt lgkmcnt(3)
	global_store_b128 v[10:11], v[6:9], off offset:1600
	;; [unrolled: 2-line block ×5, first 2 shown]
	s_and_b32 exec_lo, exec_lo, vcc_lo
	s_cbranch_execz .LBB0_29
; %bb.28:
	ds_load_b128 v[2:5], v192 offset:13072
	v_add_co_u32 v0, vcc_lo, 0x3000, v0
	v_add_co_ci_u32_e32 v1, vcc_lo, 0, v1, vcc_lo
	s_waitcnt lgkmcnt(0)
	global_store_b128 v[0:1], v[2:5], off offset:1856
.LBB0_29:
	s_nop 0
	s_sendmsg sendmsg(MSG_DEALLOC_VGPRS)
	s_endpgm
	.section	.rodata,"a",@progbits
	.p2align	6, 0x0
	.amdhsa_kernel fft_rtc_back_len884_factors_13_4_17_wgs_204_tpt_68_halfLds_dp_ip_CI_unitstride_sbrr_R2C_dirReg
		.amdhsa_group_segment_fixed_size 0
		.amdhsa_private_segment_fixed_size 0
		.amdhsa_kernarg_size 88
		.amdhsa_user_sgpr_count 15
		.amdhsa_user_sgpr_dispatch_ptr 0
		.amdhsa_user_sgpr_queue_ptr 0
		.amdhsa_user_sgpr_kernarg_segment_ptr 1
		.amdhsa_user_sgpr_dispatch_id 0
		.amdhsa_user_sgpr_private_segment_size 0
		.amdhsa_wavefront_size32 1
		.amdhsa_uses_dynamic_stack 0
		.amdhsa_enable_private_segment 0
		.amdhsa_system_sgpr_workgroup_id_x 1
		.amdhsa_system_sgpr_workgroup_id_y 0
		.amdhsa_system_sgpr_workgroup_id_z 0
		.amdhsa_system_sgpr_workgroup_info 0
		.amdhsa_system_vgpr_workitem_id 0
		.amdhsa_next_free_vgpr 236
		.amdhsa_next_free_sgpr 52
		.amdhsa_reserve_vcc 1
		.amdhsa_float_round_mode_32 0
		.amdhsa_float_round_mode_16_64 0
		.amdhsa_float_denorm_mode_32 3
		.amdhsa_float_denorm_mode_16_64 3
		.amdhsa_dx10_clamp 1
		.amdhsa_ieee_mode 1
		.amdhsa_fp16_overflow 0
		.amdhsa_workgroup_processor_mode 1
		.amdhsa_memory_ordered 1
		.amdhsa_forward_progress 0
		.amdhsa_shared_vgpr_count 0
		.amdhsa_exception_fp_ieee_invalid_op 0
		.amdhsa_exception_fp_denorm_src 0
		.amdhsa_exception_fp_ieee_div_zero 0
		.amdhsa_exception_fp_ieee_overflow 0
		.amdhsa_exception_fp_ieee_underflow 0
		.amdhsa_exception_fp_ieee_inexact 0
		.amdhsa_exception_int_div_zero 0
	.end_amdhsa_kernel
	.text
.Lfunc_end0:
	.size	fft_rtc_back_len884_factors_13_4_17_wgs_204_tpt_68_halfLds_dp_ip_CI_unitstride_sbrr_R2C_dirReg, .Lfunc_end0-fft_rtc_back_len884_factors_13_4_17_wgs_204_tpt_68_halfLds_dp_ip_CI_unitstride_sbrr_R2C_dirReg
                                        ; -- End function
	.section	.AMDGPU.csdata,"",@progbits
; Kernel info:
; codeLenInByte = 17424
; NumSgprs: 54
; NumVgprs: 236
; ScratchSize: 0
; MemoryBound: 0
; FloatMode: 240
; IeeeMode: 1
; LDSByteSize: 0 bytes/workgroup (compile time only)
; SGPRBlocks: 6
; VGPRBlocks: 29
; NumSGPRsForWavesPerEU: 54
; NumVGPRsForWavesPerEU: 236
; Occupancy: 6
; WaveLimiterHint : 1
; COMPUTE_PGM_RSRC2:SCRATCH_EN: 0
; COMPUTE_PGM_RSRC2:USER_SGPR: 15
; COMPUTE_PGM_RSRC2:TRAP_HANDLER: 0
; COMPUTE_PGM_RSRC2:TGID_X_EN: 1
; COMPUTE_PGM_RSRC2:TGID_Y_EN: 0
; COMPUTE_PGM_RSRC2:TGID_Z_EN: 0
; COMPUTE_PGM_RSRC2:TIDIG_COMP_CNT: 0
	.text
	.p2alignl 7, 3214868480
	.fill 96, 4, 3214868480
	.type	__hip_cuid_bba49b1e9eb9fbca,@object ; @__hip_cuid_bba49b1e9eb9fbca
	.section	.bss,"aw",@nobits
	.globl	__hip_cuid_bba49b1e9eb9fbca
__hip_cuid_bba49b1e9eb9fbca:
	.byte	0                               ; 0x0
	.size	__hip_cuid_bba49b1e9eb9fbca, 1

	.ident	"AMD clang version 19.0.0git (https://github.com/RadeonOpenCompute/llvm-project roc-6.4.0 25133 c7fe45cf4b819c5991fe208aaa96edf142730f1d)"
	.section	".note.GNU-stack","",@progbits
	.addrsig
	.addrsig_sym __hip_cuid_bba49b1e9eb9fbca
	.amdgpu_metadata
---
amdhsa.kernels:
  - .args:
      - .actual_access:  read_only
        .address_space:  global
        .offset:         0
        .size:           8
        .value_kind:     global_buffer
      - .offset:         8
        .size:           8
        .value_kind:     by_value
      - .actual_access:  read_only
        .address_space:  global
        .offset:         16
        .size:           8
        .value_kind:     global_buffer
      - .actual_access:  read_only
        .address_space:  global
        .offset:         24
        .size:           8
        .value_kind:     global_buffer
      - .offset:         32
        .size:           8
        .value_kind:     by_value
      - .actual_access:  read_only
        .address_space:  global
        .offset:         40
        .size:           8
        .value_kind:     global_buffer
      - .actual_access:  read_only
        .address_space:  global
        .offset:         48
        .size:           8
        .value_kind:     global_buffer
      - .offset:         56
        .size:           4
        .value_kind:     by_value
      - .actual_access:  read_only
        .address_space:  global
        .offset:         64
        .size:           8
        .value_kind:     global_buffer
      - .actual_access:  read_only
        .address_space:  global
        .offset:         72
        .size:           8
        .value_kind:     global_buffer
      - .address_space:  global
        .offset:         80
        .size:           8
        .value_kind:     global_buffer
    .group_segment_fixed_size: 0
    .kernarg_segment_align: 8
    .kernarg_segment_size: 88
    .language:       OpenCL C
    .language_version:
      - 2
      - 0
    .max_flat_workgroup_size: 204
    .name:           fft_rtc_back_len884_factors_13_4_17_wgs_204_tpt_68_halfLds_dp_ip_CI_unitstride_sbrr_R2C_dirReg
    .private_segment_fixed_size: 0
    .sgpr_count:     54
    .sgpr_spill_count: 0
    .symbol:         fft_rtc_back_len884_factors_13_4_17_wgs_204_tpt_68_halfLds_dp_ip_CI_unitstride_sbrr_R2C_dirReg.kd
    .uniform_work_group_size: 1
    .uses_dynamic_stack: false
    .vgpr_count:     236
    .vgpr_spill_count: 0
    .wavefront_size: 32
    .workgroup_processor_mode: 1
amdhsa.target:   amdgcn-amd-amdhsa--gfx1100
amdhsa.version:
  - 1
  - 2
...

	.end_amdgpu_metadata
